;; amdgpu-corpus repo=ROCm/rocFFT kind=compiled arch=gfx950 opt=O3
	.text
	.amdgcn_target "amdgcn-amd-amdhsa--gfx950"
	.amdhsa_code_object_version 6
	.protected	fft_rtc_fwd_len1105_factors_17_13_5_wgs_255_tpt_85_halfLds_half_op_CI_CI_sbrr_dirReg ; -- Begin function fft_rtc_fwd_len1105_factors_17_13_5_wgs_255_tpt_85_halfLds_half_op_CI_CI_sbrr_dirReg
	.globl	fft_rtc_fwd_len1105_factors_17_13_5_wgs_255_tpt_85_halfLds_half_op_CI_CI_sbrr_dirReg
	.p2align	8
	.type	fft_rtc_fwd_len1105_factors_17_13_5_wgs_255_tpt_85_halfLds_half_op_CI_CI_sbrr_dirReg,@function
fft_rtc_fwd_len1105_factors_17_13_5_wgs_255_tpt_85_halfLds_half_op_CI_CI_sbrr_dirReg: ; @fft_rtc_fwd_len1105_factors_17_13_5_wgs_255_tpt_85_halfLds_half_op_CI_CI_sbrr_dirReg
; %bb.0:
	s_load_dwordx4 s[12:15], s[0:1], 0x18
	s_load_dwordx4 s[4:7], s[0:1], 0x0
	;; [unrolled: 1-line block ×3, first 2 shown]
	v_mul_u32_u24_e32 v1, 0x304, v0
	v_lshrrev_b32_e32 v2, 16, v1
	s_waitcnt lgkmcnt(0)
	s_load_dwordx2 s[18:19], s[12:13], 0x0
	s_load_dwordx2 s[16:17], s[14:15], 0x0
	v_mad_u64_u32 v[6:7], s[2:3], s2, 3, v[2:3]
	v_mov_b32_e32 v10, 0
	v_mov_b32_e32 v7, v10
	v_cmp_lt_u64_e64 s[2:3], s[6:7], 2
	v_mov_b64_e32 v[8:9], 0
	s_and_b64 vcc, exec, s[2:3]
	v_mov_b64_e32 v[2:3], v[8:9]
	v_mov_b64_e32 v[4:5], v[6:7]
	s_cbranch_vccnz .LBB0_8
; %bb.1:
	s_load_dwordx2 s[2:3], s[0:1], 0x10
	s_add_u32 s20, s14, 8
	s_addc_u32 s21, s15, 0
	s_add_u32 s22, s12, 8
	s_addc_u32 s23, s13, 0
	s_waitcnt lgkmcnt(0)
	s_add_u32 s24, s2, 8
	v_mov_b64_e32 v[8:9], 0
	s_addc_u32 s25, s3, 0
	s_mov_b64 s[26:27], 1
	v_mov_b64_e32 v[2:3], v[8:9]
	v_mov_b64_e32 v[12:13], v[6:7]
.LBB0_2:                                ; =>This Inner Loop Header: Depth=1
	s_load_dwordx2 s[28:29], s[24:25], 0x0
                                        ; implicit-def: $vgpr4_vgpr5
	s_waitcnt lgkmcnt(0)
	v_or_b32_e32 v11, s29, v13
	v_cmp_ne_u64_e32 vcc, 0, v[10:11]
	s_and_saveexec_b64 s[2:3], vcc
	s_xor_b64 s[30:31], exec, s[2:3]
	s_cbranch_execz .LBB0_4
; %bb.3:                                ;   in Loop: Header=BB0_2 Depth=1
	v_cvt_f32_u32_e32 v1, s28
	v_cvt_f32_u32_e32 v4, s29
	s_sub_u32 s2, 0, s28
	s_subb_u32 s3, 0, s29
	v_fmac_f32_e32 v1, 0x4f800000, v4
	v_rcp_f32_e32 v1, v1
	s_nop 0
	v_mul_f32_e32 v1, 0x5f7ffffc, v1
	v_mul_f32_e32 v4, 0x2f800000, v1
	v_trunc_f32_e32 v4, v4
	v_fmac_f32_e32 v1, 0xcf800000, v4
	v_cvt_u32_f32_e32 v7, v4
	v_cvt_u32_f32_e32 v1, v1
	v_mul_lo_u32 v4, s2, v7
	v_mul_hi_u32 v11, s2, v1
	v_mul_lo_u32 v5, s3, v1
	v_add_u32_e32 v11, v11, v4
	v_mul_lo_u32 v16, s2, v1
	v_add_u32_e32 v11, v11, v5
	v_mul_hi_u32 v4, v1, v16
	v_mul_hi_u32 v15, v1, v11
	v_mul_lo_u32 v14, v1, v11
	v_mov_b32_e32 v5, v10
	v_lshl_add_u64 v[4:5], v[4:5], 0, v[14:15]
	v_mul_hi_u32 v15, v7, v16
	v_mul_lo_u32 v16, v7, v16
	v_add_co_u32_e32 v4, vcc, v4, v16
	v_mul_hi_u32 v14, v7, v11
	s_nop 0
	v_addc_co_u32_e32 v4, vcc, v5, v15, vcc
	v_mov_b32_e32 v5, v10
	s_nop 0
	v_addc_co_u32_e32 v15, vcc, 0, v14, vcc
	v_mul_lo_u32 v14, v7, v11
	v_lshl_add_u64 v[4:5], v[4:5], 0, v[14:15]
	v_add_co_u32_e32 v1, vcc, v1, v4
	v_mul_lo_u32 v14, s2, v1
	s_nop 0
	v_addc_co_u32_e32 v7, vcc, v7, v5, vcc
	v_mul_lo_u32 v4, s2, v7
	v_mul_hi_u32 v5, s2, v1
	v_add_u32_e32 v4, v5, v4
	v_mul_lo_u32 v5, s3, v1
	v_add_u32_e32 v11, v4, v5
	v_mul_hi_u32 v17, v7, v14
	v_mul_lo_u32 v18, v7, v14
	v_mul_hi_u32 v5, v1, v11
	v_mul_lo_u32 v4, v1, v11
	v_mul_hi_u32 v14, v1, v14
	v_mov_b32_e32 v15, v10
	v_lshl_add_u64 v[4:5], v[14:15], 0, v[4:5]
	v_add_co_u32_e32 v4, vcc, v4, v18
	v_mul_hi_u32 v16, v7, v11
	s_nop 0
	v_addc_co_u32_e32 v4, vcc, v5, v17, vcc
	v_mul_lo_u32 v14, v7, v11
	s_nop 0
	v_addc_co_u32_e32 v15, vcc, 0, v16, vcc
	v_mov_b32_e32 v5, v10
	v_lshl_add_u64 v[4:5], v[4:5], 0, v[14:15]
	v_add_co_u32_e32 v1, vcc, v1, v4
	v_mul_hi_u32 v14, v12, v1
	s_nop 0
	v_addc_co_u32_e32 v7, vcc, v7, v5, vcc
	v_mad_u64_u32 v[4:5], s[2:3], v12, v7, 0
	v_mov_b32_e32 v15, v10
	v_lshl_add_u64 v[4:5], v[14:15], 0, v[4:5]
	v_mad_u64_u32 v[16:17], s[2:3], v13, v1, 0
	v_add_co_u32_e32 v1, vcc, v4, v16
	v_mad_u64_u32 v[14:15], s[2:3], v13, v7, 0
	s_nop 0
	v_addc_co_u32_e32 v4, vcc, v5, v17, vcc
	v_mov_b32_e32 v5, v10
	s_nop 0
	v_addc_co_u32_e32 v15, vcc, 0, v15, vcc
	v_lshl_add_u64 v[4:5], v[4:5], 0, v[14:15]
	v_mul_lo_u32 v1, s29, v4
	v_mul_lo_u32 v7, s28, v5
	v_mad_u64_u32 v[14:15], s[2:3], s28, v4, 0
	v_add3_u32 v1, v15, v7, v1
	v_sub_u32_e32 v7, v13, v1
	v_mov_b32_e32 v11, s29
	v_sub_co_u32_e32 v18, vcc, v12, v14
	v_lshl_add_u64 v[16:17], v[4:5], 0, 1
	s_nop 0
	v_subb_co_u32_e64 v7, s[2:3], v7, v11, vcc
	v_subrev_co_u32_e64 v11, s[2:3], s28, v18
	v_subb_co_u32_e32 v1, vcc, v13, v1, vcc
	s_nop 0
	v_subbrev_co_u32_e64 v7, s[2:3], 0, v7, s[2:3]
	v_cmp_le_u32_e64 s[2:3], s29, v7
	v_cmp_le_u32_e32 vcc, s29, v1
	s_nop 0
	v_cndmask_b32_e64 v14, 0, -1, s[2:3]
	v_cmp_le_u32_e64 s[2:3], s28, v11
	s_nop 1
	v_cndmask_b32_e64 v11, 0, -1, s[2:3]
	v_cmp_eq_u32_e64 s[2:3], s29, v7
	s_nop 1
	v_cndmask_b32_e64 v7, v14, v11, s[2:3]
	v_lshl_add_u64 v[14:15], v[4:5], 0, 2
	v_cmp_ne_u32_e64 s[2:3], 0, v7
	v_cndmask_b32_e64 v11, 0, -1, vcc
	v_cmp_le_u32_e32 vcc, s28, v18
	v_cndmask_b32_e64 v7, v17, v15, s[2:3]
	s_nop 0
	v_cndmask_b32_e64 v15, 0, -1, vcc
	v_cmp_eq_u32_e32 vcc, s29, v1
	s_nop 1
	v_cndmask_b32_e32 v1, v11, v15, vcc
	v_cmp_ne_u32_e32 vcc, 0, v1
	v_cndmask_b32_e64 v1, v16, v14, s[2:3]
	s_nop 0
	v_cndmask_b32_e32 v5, v5, v7, vcc
	v_cndmask_b32_e32 v4, v4, v1, vcc
.LBB0_4:                                ;   in Loop: Header=BB0_2 Depth=1
	s_andn2_saveexec_b64 s[2:3], s[30:31]
	s_cbranch_execz .LBB0_6
; %bb.5:                                ;   in Loop: Header=BB0_2 Depth=1
	v_cvt_f32_u32_e32 v1, s28
	s_sub_i32 s30, 0, s28
	v_rcp_iflag_f32_e32 v1, v1
	s_nop 0
	v_mul_f32_e32 v1, 0x4f7ffffe, v1
	v_cvt_u32_f32_e32 v1, v1
	v_mul_lo_u32 v4, s30, v1
	v_mul_hi_u32 v4, v1, v4
	v_add_u32_e32 v1, v1, v4
	v_mul_hi_u32 v1, v12, v1
	v_mul_lo_u32 v4, v1, s28
	v_sub_u32_e32 v4, v12, v4
	v_add_u32_e32 v5, 1, v1
	v_subrev_u32_e32 v7, s28, v4
	v_cmp_le_u32_e32 vcc, s28, v4
	s_nop 1
	v_cndmask_b32_e32 v4, v4, v7, vcc
	v_cndmask_b32_e32 v1, v1, v5, vcc
	v_add_u32_e32 v5, 1, v1
	v_cmp_le_u32_e32 vcc, s28, v4
	s_nop 1
	v_cndmask_b32_e32 v4, v1, v5, vcc
	v_mov_b32_e32 v5, v10
.LBB0_6:                                ;   in Loop: Header=BB0_2 Depth=1
	s_or_b64 exec, exec, s[2:3]
	v_mad_u64_u32 v[14:15], s[2:3], v4, s28, 0
	s_load_dwordx2 s[2:3], s[22:23], 0x0
	s_add_u32 s26, s26, 1
	v_mul_lo_u32 v1, v5, s28
	v_mul_lo_u32 v7, v4, s29
	s_load_dwordx2 s[28:29], s[20:21], 0x0
	s_addc_u32 s27, s27, 0
	v_add3_u32 v1, v15, v7, v1
	v_sub_co_u32_e32 v7, vcc, v12, v14
	s_add_u32 s20, s20, 8
	s_nop 0
	v_subb_co_u32_e32 v1, vcc, v13, v1, vcc
	s_addc_u32 s21, s21, 0
	s_waitcnt lgkmcnt(0)
	v_mul_lo_u32 v11, s2, v1
	v_mul_lo_u32 v12, s3, v7
	v_mad_u64_u32 v[8:9], s[2:3], s2, v7, v[8:9]
	s_add_u32 s22, s22, 8
	v_add3_u32 v9, v12, v9, v11
	s_addc_u32 s23, s23, 0
	v_mov_b64_e32 v[12:13], s[6:7]
	v_mul_lo_u32 v1, s28, v1
	v_mul_lo_u32 v11, s29, v7
	v_mad_u64_u32 v[2:3], s[2:3], s28, v7, v[2:3]
	s_add_u32 s24, s24, 8
	v_cmp_ge_u64_e32 vcc, s[26:27], v[12:13]
	v_add3_u32 v3, v11, v3, v1
	s_addc_u32 s25, s25, 0
	s_cbranch_vccnz .LBB0_8
; %bb.7:                                ;   in Loop: Header=BB0_2 Depth=1
	v_mov_b64_e32 v[12:13], v[4:5]
	s_branch .LBB0_2
.LBB0_8:
	s_load_dwordx2 s[0:1], s[0:1], 0x28
	s_lshl_b64 s[20:21], s[6:7], 3
	s_mov_b32 s6, 0x3030304
	v_mul_hi_u32 v1, v0, s6
	v_mul_u32_u24_e32 v1, 0x55, v1
	s_waitcnt lgkmcnt(0)
	v_cmp_gt_u64_e32 vcc, s[0:1], v[4:5]
	v_sub_u32_e32 v10, v0, v1
	s_movk_i32 s0, 0x41
	s_add_u32 s2, s14, s20
	v_cmp_gt_u32_e64 s[0:1], s0, v10
	s_addc_u32 s3, s15, s21
	s_and_b64 s[14:15], vcc, s[0:1]
	v_mov_b32_e32 v11, 0
	v_mov_b32_e32 v1, 0
                                        ; implicit-def: $vgpr18
                                        ; implicit-def: $vgpr7
                                        ; implicit-def: $vgpr19
                                        ; implicit-def: $vgpr12
                                        ; implicit-def: $vgpr20
                                        ; implicit-def: $vgpr13
                                        ; implicit-def: $vgpr21
                                        ; implicit-def: $vgpr14
                                        ; implicit-def: $vgpr22
                                        ; implicit-def: $vgpr15
                                        ; implicit-def: $vgpr23
                                        ; implicit-def: $vgpr16
                                        ; implicit-def: $vgpr24
                                        ; implicit-def: $vgpr17
                                        ; implicit-def: $vgpr25
                                        ; implicit-def: $vgpr34
                                        ; implicit-def: $vgpr26
                                        ; implicit-def: $vgpr42
                                        ; implicit-def: $vgpr27
                                        ; implicit-def: $vgpr41
                                        ; implicit-def: $vgpr28
                                        ; implicit-def: $vgpr40
                                        ; implicit-def: $vgpr29
                                        ; implicit-def: $vgpr39
                                        ; implicit-def: $vgpr30
                                        ; implicit-def: $vgpr38
                                        ; implicit-def: $vgpr31
                                        ; implicit-def: $vgpr37
                                        ; implicit-def: $vgpr32
                                        ; implicit-def: $vgpr36
                                        ; implicit-def: $vgpr33
                                        ; implicit-def: $vgpr35
	s_and_saveexec_b64 s[6:7], s[14:15]
	s_cbranch_execz .LBB0_10
; %bb.9:
	s_add_u32 s12, s12, s20
	s_addc_u32 s13, s13, s21
	s_load_dwordx2 s[12:13], s[12:13], 0x0
	s_waitcnt lgkmcnt(0)
	v_mul_lo_u32 v7, s13, v4
	v_mul_lo_u32 v11, s12, v5
	v_mad_u64_u32 v[0:1], s[12:13], s12, v4, 0
	v_mad_u64_u32 v[12:13], s[12:13], s18, v10, 0
	v_add3_u32 v1, v1, v11, v7
	v_mov_b32_e32 v14, v13
	v_mad_u64_u32 v[14:15], s[12:13], s19, v10, v[14:15]
	v_lshl_add_u64 v[0:1], v[0:1], 2, s[8:9]
	v_add_u32_e32 v7, 0x41, v10
	v_mov_b32_e32 v13, v14
	v_lshl_add_u64 v[8:9], v[8:9], 2, v[0:1]
	v_mad_u64_u32 v[0:1], s[8:9], s18, v7, 0
	v_lshl_add_u64 v[18:19], v[12:13], 2, v[8:9]
	v_mov_b32_e32 v12, v1
	v_mad_u64_u32 v[12:13], s[8:9], s19, v7, v[12:13]
	v_mov_b32_e32 v1, v12
	v_add_u32_e32 v7, 0x82, v10
	v_lshl_add_u64 v[20:21], v[0:1], 2, v[8:9]
	v_mad_u64_u32 v[0:1], s[8:9], s18, v7, 0
	v_mov_b32_e32 v12, v1
	v_mad_u64_u32 v[12:13], s[8:9], s19, v7, v[12:13]
	v_mov_b32_e32 v1, v12
	v_add_u32_e32 v7, 0xc3, v10
	v_lshl_add_u64 v[22:23], v[0:1], 2, v[8:9]
	v_mad_u64_u32 v[0:1], s[8:9], s18, v7, 0
	;; [unrolled: 6-line block ×6, first 2 shown]
	v_mov_b32_e32 v12, v1
	v_mad_u64_u32 v[12:13], s[8:9], s19, v7, v[12:13]
	v_mov_b32_e32 v1, v12
	v_lshl_add_u64 v[32:33], v[0:1], 2, v[8:9]
	global_load_dword v1, v[18:19], off
	global_load_dword v7, v[20:21], off
	;; [unrolled: 1-line block ×8, first 2 shown]
	v_add_u32_e32 v11, 0x208, v10
	v_mad_u64_u32 v[18:19], s[8:9], s18, v11, 0
	v_mov_b32_e32 v0, v19
	s_waitcnt vmcnt(7)
	v_mad_u64_u32 v[20:21], s[8:9], s19, v11, v[0:1]
	v_add_u32_e32 v11, 0x249, v10
	v_mov_b32_e32 v19, v20
	v_mad_u64_u32 v[20:21], s[8:9], s18, v11, 0
	v_mov_b32_e32 v0, v21
	v_mad_u64_u32 v[22:23], s[8:9], s19, v11, v[0:1]
	v_add_u32_e32 v11, 0x28a, v10
	v_mov_b32_e32 v21, v22
	v_mad_u64_u32 v[22:23], s[8:9], s18, v11, 0
	v_mov_b32_e32 v0, v23
	;; [unrolled: 5-line block ×7, first 2 shown]
	v_mad_u64_u32 v[34:35], s[8:9], s19, v11, v[0:1]
	v_lshl_add_u64 v[18:19], v[18:19], 2, v[8:9]
	v_mov_b32_e32 v33, v34
	v_add_u32_e32 v11, 0x410, v10
	v_lshl_add_u64 v[20:21], v[20:21], 2, v[8:9]
	v_lshl_add_u64 v[22:23], v[22:23], 2, v[8:9]
	;; [unrolled: 1-line block ×7, first 2 shown]
	global_load_dword v34, v[18:19], off
	global_load_dword v35, v[20:21], off
	;; [unrolled: 1-line block ×8, first 2 shown]
	v_mad_u64_u32 v[18:19], s[8:9], s18, v11, 0
	v_mov_b32_e32 v0, v19
	v_mad_u64_u32 v[20:21], s[8:9], s19, v11, v[0:1]
	v_mov_b32_e32 v19, v20
	v_lshl_add_u64 v[8:9], v[18:19], 2, v[8:9]
	global_load_dword v42, v[8:9], off
	v_lshrrev_b32_e32 v11, 16, v1
	s_waitcnt vmcnt(15)
	v_lshrrev_b32_e32 v18, 16, v7
	s_waitcnt vmcnt(14)
	;; [unrolled: 2-line block ×16, first 2 shown]
	v_lshrrev_b32_e32 v26, 16, v42
.LBB0_10:
	s_or_b64 exec, exec, s[6:7]
	s_mov_b32 s6, 0xaaaaaaab
	v_mul_hi_u32 v0, v6, s6
	v_lshrrev_b32_e32 v0, 1, v0
	v_lshl_add_u32 v0, v0, 1, v0
	v_add_f16_e32 v45, v7, v42
	s_mov_b32 s8, 0x37222de8
	v_sub_u32_e32 v0, v6, v0
	v_sub_f16_e32 v55, v18, v26
	v_add_f16_e32 v6, v12, v41
	v_pk_mul_f16 v63, v45, s8 op_sel_hi:[0,1]
	s_mov_b32 s21, 0xbb29bbf7
	s_mov_b32 s9, 0xb8d2bbdd
	v_mul_u32_u24_e32 v8, 0x451, v0
	v_sub_f16_e32 v56, v19, v27
	v_add_f16_e32 v9, v13, v40
	v_pk_fma_f16 v0, v55, s21, v63 op_sel_hi:[0,1,1]
	v_pk_mul_f16 v64, v6, s9 op_sel_hi:[0,1]
	s_mov_b32 s22, 0xba62b1e1
	s_mov_b32 s12, 0xbbddb461
	v_sub_f16_e32 v54, v20, v28
	v_add_f16_e32 v43, v14, v39
	v_pk_add_f16 v0, v1, v0 op_sel_hi:[0,1]
	v_pk_fma_f16 v57, v56, s22, v64 op_sel_hi:[0,1,1]
	v_pk_mul_f16 v62, v9, s12 op_sel_hi:[0,1]
	s_mov_b32 s23, 0x31e13bb2
	s_mov_b32 s13, 0xb4613b76
	v_sub_f16_e32 v53, v21, v29
	v_add_f16_e32 v44, v15, v38
	v_pk_add_f16 v0, v0, v57
	v_pk_fma_f16 v57, v54, s23, v62 op_sel_hi:[0,1,1]
	v_pk_mul_f16 v61, v43, s13 op_sel_hi:[0,1]
	s_mov_b32 s24, 0x3bb235c8
	s_mov_b32 s14, 0x39e93722
	v_sub_f16_e32 v52, v22, v30
	v_add_f16_e32 v46, v16, v37
	v_pk_add_f16 v0, v0, v57
	;; [unrolled: 7-line block ×3, first 2 shown]
	v_pk_fma_f16 v57, v52, s25, v60 op_sel_hi:[0,1,1]
	v_pk_mul_f16 v59, v46, s18 op_sel_hi:[0,1]
	s_mov_b32 s26, 0xb5c8b836
	s_mov_b32 s19, 0x2de8b8d2
	v_sub_f16_e32 v50, v24, v32
	v_pk_add_f16 v0, v0, v57
	v_pk_fma_f16 v57, v51, s26, v59 op_sel_hi:[0,1,1]
	v_pk_mul_f16 v58, v47, s19 op_sel_hi:[0,1]
	s_mov_b32 s27, 0xbbf73a62
	v_add_f16_e32 v48, v34, v35
	v_pk_add_f16 v0, v0, v57
	v_pk_fma_f16 v57, v50, s27, v58 op_sel_hi:[0,1,1]
	s_mov_b32 s20, 0xbacd39e9
	v_sub_f16_e32 v49, v25, v33
	v_pk_add_f16 v0, v0, v57
	v_pk_mul_f16 v57, v48, s20 op_sel_hi:[0,1]
	s_mov_b32 s28, 0xb8363964
	v_pk_fma_f16 v65, v49, s28, v57 op_sel_hi:[0,1,1]
	s_mov_b32 s15, 0x5040100
	v_pk_add_f16 v0, v0, v65
	v_lshlrev_b32_e32 v8, 1, v8
	s_and_saveexec_b64 s[6:7], s[0:1]
	s_cbranch_execz .LBB0_12
; %bb.11:
	s_mov_b32 s37, 0xb461
	v_mul_f16_e32 v77, 0xbbb2, v55
	s_mov_b32 s33, 0xbacd
	v_mul_f16_e32 v78, 0x3836, v56
	v_fma_f16 v85, v45, s37, -v77
	s_movk_i32 s34, 0x39e9
	v_mul_f16_e32 v79, 0x3964, v54
	v_add_f16_e32 v85, v1, v85
	v_fma_f16 v86, v6, s33, -v78
	s_movk_i32 s35, 0x3722
	v_mul_f16_e32 v80, 0xbb29, v53
	v_add_f16_e32 v85, v85, v86
	v_fma_f16 v86, v9, s34, -v79
	s_mov_b32 s30, 0xbbdd
	v_mul_f16_e32 v81, 0xb1e1, v52
	v_add_f16_e32 v85, v85, v86
	v_fma_f16 v86, v43, s35, -v80
	s_movk_i32 s36, 0x2de8
	v_mul_f16_e32 v82, 0x3bf7, v51
	v_add_f16_e32 v85, v85, v86
	v_fma_f16 v86, v44, s30, -v81
	s_movk_i32 s29, 0x3b76
	v_mul_f16_e32 v83, 0xb5c8, v50
	v_add_f16_e32 v85, v85, v86
	v_fma_f16 v86, v46, s36, -v82
	s_mov_b32 s31, 0xb8d2
	v_mul_f16_e32 v84, 0xba62, v49
	v_add_f16_e32 v85, v85, v86
	v_fma_f16 v86, v47, s29, -v83
	v_pack_b32_f16 v65, v45, v45
	v_pk_mul_f16 v67, v55, s21 op_sel_hi:[0,1]
	v_add_f16_e32 v85, v85, v86
	v_fma_f16 v86, v48, s31, -v84
	s_mov_b32 s38, 0x3b7639e9
	v_pack_b32_f16 v66, v55, v55
	v_pack_b32_f16 v68, v6, v6
	v_pk_mul_f16 v70, v56, s22 op_sel_hi:[0,1]
	v_add_f16_e32 v85, v85, v86
	v_pk_mul_f16 v86, v65, s38
	s_mov_b32 s38, 0xb5c8b964
	s_mov_b32 s39, 0x39e92de8
	v_pk_add_f16 v63, v63, v67 op_sel:[1,1] op_sel_hi:[0,0] neg_lo:[0,1] neg_hi:[0,1]
	v_pack_b32_f16 v69, v56, v56
	v_pack_b32_f16 v71, v9, v9
	v_pk_mul_f16 v73, v54, s23 op_sel_hi:[0,1]
	v_pk_mul_f16 v87, v66, s38
	v_pk_mul_f16 v67, v68, s39
	s_mov_b32 s39, 0xb964bbf7
	v_pk_add_f16 v64, v64, v70 op_sel:[1,1] op_sel_hi:[0,0] neg_lo:[0,1] neg_hi:[0,1]
	s_mov_b32 s40, 0x3722b8d2
	v_pk_add_f16 v63, v1, v63 op_sel_hi:[0,1]
	v_pack_b32_f16 v72, v54, v54
	v_pack_b32_f16 v74, v43, v43
	v_pk_mul_f16 v70, v69, s39
	v_pk_add_f16 v87, v86, v87 op_sel:[1,1] op_sel_hi:[0,0] neg_lo:[0,1] neg_hi:[0,1]
	v_pk_add_f16 v63, v63, v64
	v_pk_mul_f16 v64, v71, s40
	s_mov_b32 s40, 0xbb29ba62
	v_pk_add_f16 v62, v62, v73 op_sel:[1,1] op_sel_hi:[0,0] neg_lo:[0,1] neg_hi:[0,1]
	s_mov_b32 s41, 0x2de8bbdd
	v_pack_b32_f16 v75, v53, v53
	v_pk_mul_f16 v76, v53, s24 op_sel_hi:[0,1]
	v_pk_add_f16 v87, v1, v87 op_sel_hi:[0,1]
	v_pk_add_f16 v70, v67, v70 op_sel:[1,1] op_sel_hi:[0,0] neg_lo:[0,1] neg_hi:[0,1]
	v_pk_mul_f16 v73, v72, s40
	v_pk_add_f16 v62, v63, v62
	v_pk_mul_f16 v63, v74, s41
	s_mov_b32 s41, 0xbbf7b1e1
	v_pk_add_f16 v70, v87, v70
	v_pk_add_f16 v73, v64, v73 op_sel:[1,1] op_sel_hi:[0,0] neg_lo:[0,1] neg_hi:[0,1]
	v_pk_add_f16 v61, v61, v76 op_sel:[1,1] op_sel_hi:[0,0] neg_lo:[0,1] neg_hi:[0,1]
	v_pk_mul_f16 v76, v75, s41
	v_pack_b32_f16 v87, v44, v44
	v_pk_add_f16 v70, v70, v73
	v_pk_add_f16 v76, v63, v76 op_sel:[1,1] op_sel_hi:[0,0] neg_lo:[0,1] neg_hi:[0,1]
	s_mov_b32 s42, 0xb461bacd
	v_pack_b32_f16 v73, v52, v52
	v_pk_add_f16 v70, v70, v76
	v_pk_mul_f16 v76, v52, s25 op_sel_hi:[0,1]
	v_pk_add_f16 v61, v62, v61
	v_pk_mul_f16 v62, v87, s42
	s_mov_b32 s42, 0xbbb23836
	v_pk_add_f16 v60, v60, v76 op_sel:[1,1] op_sel_hi:[0,0] neg_lo:[0,1] neg_hi:[0,1]
	v_pk_mul_f16 v76, v73, s42
	v_pk_add_f16 v60, v61, v60
	v_pk_add_f16 v76, v62, v76 op_sel:[1,1] op_sel_hi:[0,0] neg_lo:[0,1] neg_hi:[0,1]
	v_pk_add_f16 v70, v70, v76
	v_pack_b32_f16 v76, v46, v46
	v_pk_mul_f16 v61, v51, s26 op_sel_hi:[0,1]
	v_pack_b32_f16 v88, v51, v51
	s_mov_b32 s44, 0xb8d2b461
	s_mov_b32 s43, 0xba623bb2
	v_pk_add_f16 v59, v59, v61 op_sel:[1,1] op_sel_hi:[0,0] neg_lo:[0,1] neg_hi:[0,1]
	v_pk_mul_f16 v89, v76, s44
	v_pk_mul_f16 v61, v88, s43
	v_pk_add_f16 v59, v60, v59
	v_pk_add_f16 v61, v89, v61 op_sel:[1,1] op_sel_hi:[0,0] neg_lo:[0,1] neg_hi:[0,1]
	v_pk_mul_f16 v60, v50, s27 op_sel_hi:[0,1]
	v_pk_add_f16 v61, v70, v61
	v_pk_add_f16 v58, v58, v60 op_sel:[1,1] op_sel_hi:[0,0] neg_lo:[0,1] neg_hi:[0,1]
	s_mov_b32 s45, 0xbacd3722
	s_mov_b32 s44, 0xb8363b29
	v_pack_b32_f16 v70, v47, v47
	v_pack_b32_f16 v90, v50, v50
	v_pk_mul_f16 v91, v70, s45
	v_pk_mul_f16 v60, v90, s44
	v_pk_add_f16 v58, v59, v58
	v_pk_mul_f16 v59, v49, s28 op_sel_hi:[0,1]
	s_mov_b32 s45, 0xbbdd3b76
	s_mov_b32 s46, 0xb1e135c8
	v_pack_b32_f16 v92, v48, v48
	v_pack_b32_f16 v93, v49, v49
	s_mov_b32 s47, 0xb836ba62
	v_pk_add_f16 v60, v91, v60 op_sel:[1,1] op_sel_hi:[0,0] neg_lo:[0,1] neg_hi:[0,1]
	v_pk_add_f16 v57, v57, v59 op_sel:[1,1] op_sel_hi:[0,0] neg_lo:[0,1] neg_hi:[0,1]
	v_pk_mul_f16 v94, v92, s45
	v_pk_mul_f16 v59, v93, s46
	s_mov_b32 s45, 0xbacdb8d2
	s_mov_b32 s49, 0x3b293bb2
	v_pk_mul_f16 v97, v66, s47
	v_pk_add_f16 v60, v61, v60
	v_pk_add_f16 v59, v94, v59 op_sel:[1,1] op_sel_hi:[0,0] neg_lo:[0,1] neg_hi:[0,1]
	v_pk_add_f16 v57, v58, v57
	s_mov_b32 s48, 0x3722b461
	v_perm_b32 v96, v1, v1, s15
	v_pk_fma_f16 v58, v65, s45, v97 neg_lo:[0,0,1] neg_hi:[0,0,1]
	v_pk_mul_f16 v98, v69, s49
	s_mov_b32 s49, 0xbbf7b5c8
	v_pk_add_f16 v95, v60, v59
	v_pk_add_f16 v58, v96, v58
	v_pk_fma_f16 v59, v68, s48, v98 neg_lo:[0,0,1] neg_hi:[0,0,1]
	s_mov_b32 s47, 0x2de83b76
	v_pk_mul_f16 v99, v72, s49
	s_mov_b32 s50, 0x3a62b836
	v_pk_add_f16 v58, v58, v59
	v_pk_fma_f16 v59, v71, s47, v99 neg_lo:[0,0,1] neg_hi:[0,0,1]
	s_mov_b32 s49, 0xb8d2bacd
	v_pk_mul_f16 v100, v75, s50
	s_mov_b32 s51, 0xb5c83bf7
	;; [unrolled: 5-line block ×5, first 2 shown]
	v_pk_add_f16 v58, v58, v59
	v_pk_fma_f16 v59, v70, s52, v103 neg_lo:[0,0,1] neg_hi:[0,0,1]
	s_mov_b32 s53, 0xb4613722
	v_pk_mul_f16 v104, v93, s54
	v_pk_add_f16 v58, v58, v59
	v_pk_fma_f16 v59, v92, s53, v104 neg_lo:[0,0,1] neg_hi:[0,0,1]
	v_alignbit_b32 v60, v85, v57, 16
	v_pk_add_f16 v61, v58, v59
	v_alignbit_b32 v59, v57, v95, 16
	v_add_f16_e32 v57, v1, v7
	v_add_f16_e32 v57, v57, v12
	;; [unrolled: 1-line block ×16, first 2 shown]
	v_pack_b32_f16 v58, v57, v95
	v_mul_u32_u24_e32 v57, 34, v10
	v_add3_u32 v57, 0, v57, v8
	v_mul_f16_e32 v55, 0xb1e1, v55
	ds_write_b128 v57, v[58:61]
	v_mul_f16_e32 v56, 0x35c8, v56
	v_fma_f16 v58, v45, s30, -v55
	v_add_f16_e32 v58, v1, v58
	v_fma_f16 v59, v6, s29, -v56
	v_mul_f16_e32 v54, 0xb836, v54
	v_add_f16_e32 v58, v58, v59
	v_fma_f16 v59, v9, s33, -v54
	v_mul_f16_e32 v53, 0x3964, v53
	;; [unrolled: 3-line block ×6, first 2 shown]
	v_add_f16_e32 v58, v58, v59
	v_fma_f16 v59, v48, s36, -v49
	v_add_f16_e32 v58, v58, v59
	v_pk_mul_f16 v59, v65, s45
	v_fma_f16 v77, v45, s37, v77
	v_add_f16_e32 v61, v97, v59
	v_add_f16_e32 v61, v1, v61
	v_add_f16_e32 v1, v1, v77
	v_fma_f16 v77, v6, s33, v78
	v_add_f16_e32 v1, v1, v77
	v_fma_f16 v77, v9, s34, v79
	v_add_f16_e32 v1, v1, v77
	;; [unrolled: 2-line block ×5, first 2 shown]
	v_fma_f16 v77, v47, s29, v83
	s_mov_b32 s29, 0xffff
	v_mul_f16_e32 v45, 0xbbdd, v45
	v_pk_mul_f16 v60, v68, s48
	v_bfi_b32 v55, s29, v55, v97
	v_bfi_b32 v45, s29, v45, v59
	v_mul_f16_e32 v6, 0x3b76, v6
	v_add_f16_e32 v65, v98, v60
	v_pk_add_f16 v45, v55, v45
	v_bfi_b32 v55, s29, v56, v98
	v_bfi_b32 v6, s29, v6, v60
	v_add_f16_e32 v61, v61, v65
	v_pk_mul_f16 v65, v71, s47
	v_mul_f16_e32 v9, 0xbacd, v9
	v_pk_add_f16 v45, v96, v45
	v_pk_add_f16 v6, v55, v6
	v_add_f16_e32 v68, v99, v65
	v_pk_add_f16 v6, v45, v6
	v_bfi_b32 v45, s29, v54, v99
	v_bfi_b32 v9, s29, v9, v65
	v_add_f16_e32 v61, v61, v68
	v_pk_mul_f16 v68, v74, s49
	v_mul_f16_e32 v43, 0x39e9, v43
	v_pk_add_f16 v9, v45, v9
	v_add_f16_e32 v71, v100, v68
	v_pk_add_f16 v6, v6, v9
	v_bfi_b32 v9, s29, v53, v100
	v_bfi_b32 v43, s29, v43, v68
	v_add_f16_e32 v61, v61, v71
	v_pk_mul_f16 v71, v87, s50
	v_mul_f16_e32 v44, 0xb8d2, v44
	;; [unrolled: 8-line block ×3, first 2 shown]
	v_pk_add_f16 v9, v9, v43
	v_bfi_b32 v43, s29, v46, v74
	v_pk_add_f16 v6, v6, v9
	v_bfi_b32 v9, s29, v51, v102
	v_add_f16_e32 v76, v102, v74
	v_pk_mul_f16 v70, v70, s52
	v_mul_f16_e32 v47, 0xb461, v47
	v_pk_add_f16 v9, v9, v43
	v_add_f16_e32 v61, v61, v76
	v_add_f16_e32 v76, v103, v70
	v_pk_add_f16 v6, v6, v9
	v_bfi_b32 v9, s29, v50, v103
	v_bfi_b32 v43, s29, v47, v70
	v_add_f16_e32 v61, v61, v76
	v_pk_mul_f16 v76, v92, s53
	v_add_f16_e32 v1, v1, v77
	v_fma_f16 v77, v48, s31, v84
	v_mul_f16_e32 v48, 0x2de8, v48
	v_pk_add_f16 v9, v9, v43
	v_bfi_b32 v43, s29, v48, v76
	v_pk_add_f16 v6, v6, v9
	v_bfi_b32 v9, s29, v49, v104
	v_add_f16_e32 v85, v104, v76
	v_pk_add_f16 v9, v9, v43
	v_add_f16_e32 v61, v61, v85
	v_pk_add_f16 v6, v6, v9
	v_add_f16_e32 v1, v1, v77
	v_alignbit_b32 v45, v61, v6, 16
	v_pack_b32_f16 v44, v58, v6
	ds_write_b64 v57, v[44:45] offset:16
	ds_write_b16 v57, v1 offset:24
	v_pk_fma_f16 v1, v66, s38, v86
	v_pk_fma_f16 v6, v69, s39, v67
	v_pk_add_f16 v1, v96, v1
	s_nop 0
	v_pk_add_f16 v1, v1, v6
	v_pk_fma_f16 v6, v72, s40, v64
	s_nop 0
	v_pk_add_f16 v1, v1, v6
	v_pk_fma_f16 v6, v75, s41, v63
	;; [unrolled: 3-line block ×6, first 2 shown]
	s_nop 0
	v_pk_add_f16 v1, v1, v6
	ds_write_b64 v57, v[0:1] offset:26
.LBB0_12:
	s_or_b64 exec, exec, s[6:7]
	v_sub_f16_e32 v64, v7, v42
	v_add_f16_e32 v63, v18, v26
	v_sub_f16_e32 v62, v12, v41
	v_pk_mul_f16 v51, v64, s21 op_sel_hi:[0,1]
	v_add_f16_e32 v61, v19, v27
	v_sub_f16_e32 v60, v13, v40
	v_pk_fma_f16 v1, v63, s8, v51 op_sel_hi:[0,1,1] neg_lo:[0,0,1] neg_hi:[0,0,1]
	v_pk_mul_f16 v50, v62, s22 op_sel_hi:[0,1]
	v_add_f16_e32 v59, v20, v28
	v_sub_f16_e32 v58, v14, v39
	v_pk_add_f16 v1, v11, v1 op_sel_hi:[0,1]
	v_pk_fma_f16 v6, v61, s9, v50 op_sel_hi:[0,1,1] neg_lo:[0,0,1] neg_hi:[0,0,1]
	v_pk_mul_f16 v49, v60, s23 op_sel_hi:[0,1]
	v_add_f16_e32 v57, v21, v29
	v_sub_f16_e32 v56, v15, v38
	v_pk_add_f16 v1, v1, v6
	v_pk_fma_f16 v6, v59, s12, v49 op_sel_hi:[0,1,1] neg_lo:[0,0,1] neg_hi:[0,0,1]
	v_pk_mul_f16 v48, v58, s24 op_sel_hi:[0,1]
	v_add_f16_e32 v55, v22, v30
	v_sub_f16_e32 v54, v16, v37
	v_pk_add_f16 v1, v1, v6
	;; [unrolled: 5-line block ×3, first 2 shown]
	v_pk_fma_f16 v6, v55, s14, v47 op_sel_hi:[0,1,1] neg_lo:[0,0,1] neg_hi:[0,0,1]
	v_pk_mul_f16 v46, v54, s26 op_sel_hi:[0,1]
	v_add_f16_e32 v7, v24, v32
	v_pk_add_f16 v1, v1, v6
	v_pk_fma_f16 v6, v53, s18, v46 op_sel_hi:[0,1,1] neg_lo:[0,0,1] neg_hi:[0,0,1]
	v_pk_mul_f16 v45, v52, s27 op_sel_hi:[0,1]
	v_pk_add_f16 v1, v1, v6
	v_pk_fma_f16 v6, v7, s19, v45 op_sel_hi:[0,1,1] neg_lo:[0,0,1] neg_hi:[0,0,1]
	v_pk_add_f16 v6, v1, v6
	v_lshlrev_b32_e32 v1, 1, v10
	v_add3_u32 v9, 0, v8, v1
	v_add_u32_e32 v13, 0, v1
	v_sub_f16_e32 v43, v34, v35
	s_waitcnt lgkmcnt(0)
	s_barrier
	v_add_u32_e32 v1, v13, v8
	ds_read_u16 v12, v9
	ds_read_u16 v41, v1 offset:170
	ds_read_u16 v40, v1 offset:340
	;; [unrolled: 1-line block ×12, first 2 shown]
	v_add_f16_e32 v42, v25, v33
	v_pk_mul_f16 v44, v43, s28 op_sel_hi:[0,1]
	v_pk_fma_f16 v65, v42, s20, v44 op_sel_hi:[0,1,1] neg_lo:[0,0,1] neg_hi:[0,0,1]
	v_pk_add_f16 v6, v6, v65
	s_waitcnt lgkmcnt(0)
	s_barrier
	s_and_saveexec_b64 s[6:7], s[0:1]
	s_cbranch_execz .LBB0_14
; %bb.13:
	v_add_f16_e32 v18, v11, v18
	v_add_f16_e32 v18, v18, v19
	v_add_f16_e32 v18, v18, v20
	v_add_f16_e32 v18, v18, v21
	v_add_f16_e32 v18, v18, v22
	v_add_f16_e32 v18, v18, v23
	v_add_f16_e32 v18, v18, v24
	v_add_f16_e32 v18, v18, v25
	v_add_f16_e32 v18, v18, v33
	v_add_f16_e32 v18, v32, v18
	v_add_f16_e32 v18, v31, v18
	v_add_f16_e32 v18, v30, v18
	v_mul_f16_e32 v19, 0xbbb2, v64
	s_mov_b32 s0, 0xb461
	v_pk_mul_f16 v82, v63, s8 op_sel_hi:[0,1]
	v_add_f16_e32 v18, v29, v18
	v_fma_f16 v20, v63, s0, v19
	v_mul_f16_e32 v24, 0x3836, v62
	s_mov_b32 s8, 0xbacd
	v_add_f16_e32 v18, v28, v18
	v_add_f16_e32 v20, v11, v20
	s_mov_b32 s1, 0xbbdd
	v_mul_f16_e32 v23, 0xb1e1, v64
	v_fma_f16 v25, v61, s8, v24
	v_pk_mul_f16 v83, v61, s9 op_sel_hi:[0,1]
	v_add_f16_e32 v18, v27, v18
	v_fma_f16 v21, v63, s1, v23
	v_add_f16_e32 v20, v20, v25
	s_movk_i32 s9, 0x3b76
	v_mul_f16_e32 v25, 0x35c8, v62
	v_add_f16_e32 v18, v26, v18
	v_add_f16_e32 v21, v11, v21
	v_fma_f16 v26, v61, s9, v25
	v_pk_mul_f16 v84, v59, s12 op_sel_hi:[0,1]
	v_add_f16_e32 v21, v21, v26
	v_mul_f16_e32 v26, 0x3964, v60
	s_movk_i32 s12, 0x39e9
	v_fma_f16 v27, v59, s12, v26
	v_add_f16_e32 v20, v20, v27
	v_mul_f16_e32 v27, 0xb836, v60
	v_fma_f16 v28, v59, s8, v27
	v_fma_f16 v24, v61, s8, -v24
	v_add_f16_e32 v21, v21, v28
	v_mul_f16_e32 v28, 0xbb29, v58
	s_movk_i32 s8, 0x3722
	v_fma_f16 v29, v57, s8, v28
	v_add_f16_e32 v20, v20, v29
	v_mul_f16_e32 v29, 0x3964, v58
	v_fma_f16 v30, v57, s12, v29
	v_add_f16_e32 v21, v21, v30
	v_mul_f16_e32 v30, 0xb1e1, v56
	v_fma_f16 v19, v63, s0, -v19
	v_fma_f16 v31, v55, s1, v30
	v_add_f16_e32 v19, v11, v19
	v_add_f16_e32 v20, v20, v31
	v_fma_f16 v30, v55, s1, -v30
	s_mov_b32 s1, 0xb8d2
	v_mul_f16_e32 v31, 0xba62, v56
	v_add_f16_e32 v19, v19, v24
	v_fma_f16 v26, v59, s12, -v26
	v_fma_f16 v32, v55, s1, v31
	v_add_f16_e32 v19, v19, v26
	v_fma_f16 v28, v57, s8, -v28
	v_add_f16_e32 v21, v21, v32
	v_mul_f16_e32 v32, 0x3bf7, v54
	s_movk_i32 s12, 0x2de8
	v_add_f16_e32 v19, v19, v28
	v_fma_f16 v33, v53, s12, v32
	v_add_f16_e32 v19, v19, v30
	v_add_f16_e32 v20, v20, v33
	v_fma_f16 v32, v53, s12, -v32
	v_mul_f16_e32 v33, 0x3b29, v54
	v_pack_b32_f16 v76, v53, v53
	v_pk_mul_f16 v87, v53, s18 op_sel_hi:[0,1]
	v_add_f16_e32 v19, v19, v32
	v_mul_f16_e32 v32, 0x3722, v53
	v_fma_f16 v53, v53, s8, v33
	v_add_f16_e32 v21, v21, v53
	v_mul_f16_e32 v53, 0xb5c8, v52
	v_pack_b32_f16 v66, v64, v64
	v_pack_b32_f16 v77, v54, v54
	;; [unrolled: 1-line block ×3, first 2 shown]
	v_fma_f16 v54, v7, s9, v53
	v_fma_f16 v53, v7, s9, -v53
	v_mul_f16_e32 v52, 0xbbb2, v52
	s_mov_b32 s8, 0xb5c8b964
	v_pack_b32_f16 v65, v63, v63
	v_pack_b32_f16 v69, v62, v62
	;; [unrolled: 1-line block ×4, first 2 shown]
	v_pk_mul_f16 v86, v55, s14 op_sel_hi:[0,1]
	v_pk_mul_f16 v88, v7, s19 op_sel_hi:[0,1]
	v_mul_f16_e32 v30, 0xb8d2, v55
	v_add_f16_e32 v19, v19, v53
	v_mul_f16_e32 v53, 0xb461, v7
	v_fma_f16 v7, v7, s0, v52
	s_mov_b32 s0, 0x3b7639e9
	v_pk_mul_f16 v55, v66, s8
	s_mov_b32 s8, 0xb964bbf7
	v_perm_b32 v67, v11, v11, s15
	v_pack_b32_f16 v68, v61, v61
	v_pack_b32_f16 v71, v60, v60
	;; [unrolled: 1-line block ×3, first 2 shown]
	v_pk_mul_f16 v85, v57, s13 op_sel_hi:[0,1]
	v_mul_f16_e32 v28, 0x39e9, v57
	v_add_f16_e32 v20, v20, v54
	v_add_f16_e32 v54, v21, v7
	v_pk_mul_f16 v21, v65, s0
	v_pk_fma_f16 v7, v65, s0, v55 neg_lo:[0,0,1] neg_hi:[0,0,1]
	s_mov_b32 s0, 0x39e92de8
	v_pk_mul_f16 v57, v69, s8
	s_mov_b32 s8, 0xbb29ba62
	v_pack_b32_f16 v70, v59, v59
	v_pack_b32_f16 v73, v58, v58
	;; [unrolled: 1-line block ×3, first 2 shown]
	v_mul_f16_e32 v26, 0xbacd, v59
	v_pk_add_f16 v7, v67, v7
	v_pk_mul_f16 v56, v68, s0
	v_pk_fma_f16 v58, v68, s0, v57 neg_lo:[0,0,1] neg_hi:[0,0,1]
	s_mov_b32 s0, 0x3722b8d2
	v_pk_mul_f16 v59, v71, s8
	s_mov_b32 s8, 0xbbf7b1e1
	v_pk_add_f16 v21, v21, v55 op_sel:[1,1] op_sel_hi:[0,0]
	v_pk_add_f16 v51, v82, v51 op_sel:[1,1] op_sel_hi:[0,0]
	v_mul_f16_e32 v24, 0x3b76, v61
	v_pk_add_f16 v7, v7, v58
	v_pk_mul_f16 v58, v70, s0
	v_pk_fma_f16 v60, v70, s0, v59 neg_lo:[0,0,1] neg_hi:[0,0,1]
	s_mov_b32 s0, 0x2de8bbdd
	v_pk_mul_f16 v61, v73, s8
	s_mov_b32 s8, 0xbbb23836
	v_pk_add_f16 v21, v11, v21 op_sel_hi:[0,1]
	v_pk_add_f16 v51, v11, v51 op_sel_hi:[0,1]
	v_pk_add_f16 v55, v56, v57 op_sel:[1,1] op_sel_hi:[0,0]
	v_pk_add_f16 v50, v83, v50 op_sel:[1,1] op_sel_hi:[0,0]
	v_mul_f16_e32 v22, 0xbbdd, v63
	v_pk_add_f16 v7, v7, v60
	v_pk_mul_f16 v60, v72, s0
	v_pk_fma_f16 v62, v72, s0, v61 neg_lo:[0,0,1] neg_hi:[0,0,1]
	s_mov_b32 s0, 0xb461bacd
	v_pk_mul_f16 v63, v75, s8
	s_mov_b32 s8, 0xba623bb2
	v_pk_add_f16 v21, v21, v55
	v_pk_add_f16 v50, v51, v50
	v_pk_add_f16 v51, v58, v59 op_sel:[1,1] op_sel_hi:[0,0]
	v_pk_add_f16 v49, v84, v49 op_sel:[1,1] op_sel_hi:[0,0]
	v_pk_add_f16 v7, v7, v62
	v_pk_mul_f16 v62, v74, s0
	v_pk_fma_f16 v64, v74, s0, v63 neg_lo:[0,0,1] neg_hi:[0,0,1]
	s_mov_b32 s0, 0xb8d2b461
	v_pk_mul_f16 v90, v77, s8
	s_mov_b32 s8, 0xb8363b29
	v_pk_add_f16 v21, v21, v51
	v_pk_add_f16 v49, v50, v49
	v_pk_add_f16 v50, v60, v61 op_sel:[1,1] op_sel_hi:[0,0]
	v_pk_add_f16 v48, v85, v48 op_sel:[1,1] op_sel_hi:[0,0]
	v_pk_add_f16 v7, v7, v64
	v_pk_mul_f16 v64, v76, s0
	v_pk_fma_f16 v91, v76, s0, v90 neg_lo:[0,0,1] neg_hi:[0,0,1]
	s_mov_b32 s0, 0xbacd3722
	v_pk_mul_f16 v92, v79, s8
	v_pk_add_f16 v21, v21, v50
	v_pk_add_f16 v48, v49, v48
	v_pk_add_f16 v49, v62, v63 op_sel:[1,1] op_sel_hi:[0,0]
	v_pk_add_f16 v47, v86, v47 op_sel:[1,1] op_sel_hi:[0,0]
	v_pack_b32_f16 v80, v42, v42
	v_pack_b32_f16 v81, v43, v43
	v_pk_add_f16 v7, v7, v91
	v_pk_mul_f16 v91, v78, s0
	v_pk_fma_f16 v93, v78, s0, v92 neg_lo:[0,0,1] neg_hi:[0,0,1]
	s_mov_b32 s0, 0xbbdd3b76
	s_mov_b32 s8, 0xb1e135c8
	v_pk_add_f16 v21, v21, v49
	v_pk_add_f16 v47, v48, v47
	v_pk_add_f16 v48, v64, v90 op_sel:[1,1] op_sel_hi:[0,0]
	v_pk_add_f16 v46, v87, v46 op_sel:[1,1] op_sel_hi:[0,0]
	v_pk_add_f16 v7, v7, v93
	v_pk_mul_f16 v93, v80, s0
	v_pk_mul_f16 v94, v81, s8
	v_pk_add_f16 v21, v21, v48
	v_pk_add_f16 v46, v47, v46
	v_pk_add_f16 v47, v91, v92 op_sel:[1,1] op_sel_hi:[0,0]
	v_pk_add_f16 v45, v88, v45 op_sel:[1,1] op_sel_hi:[0,0]
	v_pk_mul_f16 v89, v42, s20 op_sel_hi:[0,1]
	v_pk_add_f16 v21, v21, v47
	v_pk_add_f16 v45, v46, v45
	v_pk_add_f16 v46, v93, v94 op_sel:[1,1] op_sel_hi:[0,0]
	v_pk_add_f16 v44, v89, v44 op_sel:[1,1] op_sel_hi:[0,0]
	v_pk_add_f16 v46, v21, v46
	v_mul_f16_e32 v21, 0xba62, v43
	v_pk_fma_f16 v95, v80, s0, v94 neg_lo:[0,0,1] neg_hi:[0,0,1]
	v_pk_add_f16 v44, v45, v44
	v_fma_f16 v45, v42, s1, v21
	v_fma_f16 v21, v42, s1, -v21
	s_mov_b32 s0, 0xbacdb8d2
	s_mov_b32 s1, 0xb836ba62
	v_add_f16_e32 v20, v20, v45
	v_add_f16_e32 v45, v19, v21
	v_pk_mul_f16 v19, v65, s0
	v_pk_mul_f16 v47, v66, s1
	s_mov_b32 s1, 0x3b293bb2
	v_sub_f16_e32 v21, v19, v47
	v_add_f16_e32 v11, v11, v21
	v_pk_fma_f16 v21, v65, s0, v47
	s_mov_b32 s0, 0x3722b461
	v_pk_mul_f16 v48, v68, s0
	v_pk_mul_f16 v49, v69, s1
	v_pk_add_f16 v21, v67, v21
	v_sub_f16_e32 v50, v48, v49
	v_add_f16_e32 v11, v11, v50
	v_pk_fma_f16 v50, v68, s0, v49
	s_mov_b32 s0, 0x2de83b76
	s_mov_b32 s1, 0xbbf7b5c8
	v_pk_add_f16 v21, v21, v50
	v_pk_mul_f16 v50, v70, s0
	v_pk_mul_f16 v51, v71, s1
	s_mov_b32 s1, 0x3a62b836
	v_sub_f16_e32 v55, v50, v51
	v_add_f16_e32 v11, v11, v55
	v_pk_fma_f16 v55, v70, s0, v51
	s_mov_b32 s0, 0xb8d2bacd
	v_pk_add_f16 v21, v21, v55
	v_pk_mul_f16 v55, v72, s0
	v_pk_mul_f16 v56, v73, s1
	s_mov_b32 s1, 0xb5c83bf7
	v_sub_f16_e32 v57, v55, v56
	v_add_f16_e32 v11, v11, v57
	v_pk_fma_f16 v57, v72, s0, v56
	;; [unrolled: 8-line block ×5, first 2 shown]
	s_mov_b32 s0, 0xb4613722
	v_pk_mul_f16 v64, v81, s1
	v_pk_add_f16 v21, v21, v63
	v_pk_mul_f16 v63, v80, s0
	v_pk_fma_f16 v65, v80, s0, v64
	s_mov_b32 s0, 0xffff
	v_bfi_b32 v19, s0, v22, v19
	v_bfi_b32 v22, s0, v23, v47
	v_pk_add_f16 v19, v19, v22 neg_lo:[0,1] neg_hi:[0,1]
	v_bfi_b32 v22, s0, v24, v48
	v_bfi_b32 v23, s0, v25, v49
	v_pk_add_f16 v19, v67, v19
	v_pk_add_f16 v22, v22, v23 neg_lo:[0,1] neg_hi:[0,1]
	v_bfi_b32 v23, s0, v27, v51
	v_pk_add_f16 v19, v19, v22
	v_bfi_b32 v22, s0, v26, v50
	v_pk_add_f16 v22, v22, v23 neg_lo:[0,1] neg_hi:[0,1]
	v_bfi_b32 v23, s0, v29, v56
	v_pk_add_f16 v19, v19, v22
	v_bfi_b32 v22, s0, v28, v55
	;; [unrolled: 4-line block ×5, first 2 shown]
	v_pk_add_f16 v21, v21, v65
	v_mul_f16_e32 v65, 0x2de8, v42
	v_mul_f16_e32 v43, 0x3bf7, v43
	v_pk_add_f16 v22, v22, v23 neg_lo:[0,1] neg_hi:[0,1]
	v_bfi_b32 v23, s0, v43, v64
	v_pk_add_f16 v19, v19, v22
	v_bfi_b32 v22, s0, v65, v63
	v_pk_add_f16 v22, v22, v23 neg_lo:[0,1] neg_hi:[0,1]
	v_sub_f16_e32 v66, v63, v64
	v_fma_f16 v42, v42, s12, v43
	v_pk_add_f16 v22, v19, v22
	v_lshlrev_b32_e32 v19, 5, v10
	v_add_f16_e32 v11, v11, v66
	v_add_f16_e32 v42, v54, v42
	v_add3_u32 v13, v13, v19, v8
	v_alignbit_b32 v20, v20, v44, 16
	v_alignbit_b32 v19, v44, v46, 16
	v_pack_b32_f16 v18, v18, v46
	ds_write_b128 v13, v[18:21]
	v_alignbit_b32 v19, v11, v22, 16
	v_pack_b32_f16 v18, v42, v22
	v_pk_add_f16 v7, v7, v95
	ds_write_b64 v13, v[18:19] offset:16
	ds_write_b16 v13, v45 offset:24
	ds_write_b64 v13, v[6:7] offset:26
.LBB0_14:
	s_or_b64 exec, exec, s[6:7]
	s_movk_i32 s0, 0xf1
	v_mul_lo_u16_sdwa v7, v10, s0 dst_sel:DWORD dst_unused:UNUSED_PAD src0_sel:BYTE_0 src1_sel:DWORD
	v_lshrrev_b16_e32 v22, 12, v7
	v_mul_lo_u16_e32 v7, 17, v22
	v_sub_u16_e32 v24, v10, v7
	v_mov_b32_e32 v7, 12
	v_mul_u32_u24_sdwa v7, v24, v7 dst_sel:DWORD dst_unused:UNUSED_PAD src0_sel:BYTE_0 src1_sel:DWORD
	v_lshlrev_b32_e32 v7, 2, v7
	s_load_dwordx2 s[2:3], s[2:3], 0x0
	s_waitcnt lgkmcnt(0)
	s_barrier
	global_load_dwordx4 v[18:21], v7, s[4:5]
	global_load_dwordx4 v[46:49], v7, s[4:5] offset:16
	global_load_dwordx4 v[50:53], v7, s[4:5] offset:32
	ds_read_u16 v13, v9
	ds_read_u16 v7, v1 offset:170
	ds_read_u16 v11, v1 offset:340
	;; [unrolled: 1-line block ×12, first 2 shown]
	s_movk_i32 s8, 0x2fb7
	s_mov_b32 s14, 0xbbc4
	s_mov_b32 s9, 0xb5ac
	;; [unrolled: 1-line block ×3, first 2 shown]
	s_movk_i32 s15, 0x3b15
	s_movk_i32 s13, 0x388b
	s_mov_b32 s21, 0xba95b770
	s_mov_b32 s18, 0x388b3b15
	;; [unrolled: 1-line block ×12, first 2 shown]
	s_movk_i32 s0, 0x1ba
	v_mad_u32_u24 v22, v22, s0, 0
	s_waitcnt lgkmcnt(0)
	s_barrier
	v_cmp_gt_u32_e64 s[0:1], 51, v10
	s_waitcnt vmcnt(2)
	v_mul_f16_sdwa v29, v7, v18 dst_sel:DWORD dst_unused:UNUSED_PAD src0_sel:DWORD src1_sel:WORD_1
	v_mul_f16_sdwa v30, v41, v18 dst_sel:DWORD dst_unused:UNUSED_PAD src0_sel:DWORD src1_sel:WORD_1
	;; [unrolled: 1-line block ×3, first 2 shown]
	v_fma_f16 v43, v41, v18, -v29
	v_mul_f16_sdwa v57, v23, v20 dst_sel:DWORD dst_unused:UNUSED_PAD src0_sel:DWORD src1_sel:WORD_1
	v_fma_f16 v45, v7, v18, v30
	v_fma_f16 v41, v40, v19, -v31
	v_add_f16_e32 v7, v12, v43
	v_mul_f16_sdwa v33, v40, v19 dst_sel:DWORD dst_unused:UNUSED_PAD src0_sel:DWORD src1_sel:WORD_1
	v_mul_f16_sdwa v58, v39, v20 dst_sel:DWORD dst_unused:UNUSED_PAD src0_sel:DWORD src1_sel:WORD_1
	;; [unrolled: 1-line block ×3, first 2 shown]
	v_fma_f16 v39, v39, v20, -v57
	v_add_f16_e32 v7, v7, v41
	s_waitcnt vmcnt(1)
	v_mul_f16_sdwa v61, v26, v46 dst_sel:DWORD dst_unused:UNUSED_PAD src0_sel:DWORD src1_sel:WORD_1
	v_fma_f16 v42, v11, v19, v33
	v_fma_f16 v33, v38, v21, -v59
	v_add_f16_e32 v7, v7, v39
	v_mul_f16_sdwa v63, v27, v47 dst_sel:DWORD dst_unused:UNUSED_PAD src0_sel:DWORD src1_sel:WORD_1
	v_fma_f16 v29, v37, v46, -v61
	v_add_f16_e32 v7, v7, v33
	v_mul_f16_sdwa v60, v38, v21 dst_sel:DWORD dst_unused:UNUSED_PAD src0_sel:DWORD src1_sel:WORD_1
	v_mul_f16_sdwa v62, v37, v46 dst_sel:DWORD dst_unused:UNUSED_PAD src0_sel:DWORD src1_sel:WORD_1
	;; [unrolled: 1-line block ×4, first 2 shown]
	s_waitcnt vmcnt(0)
	v_mul_f16_sdwa v76, v14, v53 dst_sel:DWORD dst_unused:UNUSED_PAD src0_sel:DWORD src1_sel:WORD_1
	v_fma_f16 v40, v23, v20, v58
	v_fma_f16 v23, v36, v47, -v63
	v_add_f16_e32 v7, v7, v29
	v_mul_f16_sdwa v67, v32, v49 dst_sel:DWORD dst_unused:UNUSED_PAD src0_sel:DWORD src1_sel:WORD_1
	v_mul_f16_sdwa v70, v17, v50 dst_sel:DWORD dst_unused:UNUSED_PAD src0_sel:DWORD src1_sel:WORD_1
	;; [unrolled: 1-line block ×4, first 2 shown]
	v_fma_f16 v38, v25, v21, v60
	v_fma_f16 v30, v26, v46, v62
	;; [unrolled: 1-line block ×3, first 2 shown]
	v_fma_f16 v26, v35, v48, -v65
	v_fma_f16 v47, v56, v53, v76
	v_add_f16_e32 v7, v7, v23
	v_mul_f16_sdwa v66, v35, v48 dst_sel:DWORD dst_unused:UNUSED_PAD src0_sel:DWORD src1_sel:WORD_1
	v_mul_f16_sdwa v69, v44, v50 dst_sel:DWORD dst_unused:UNUSED_PAD src0_sel:DWORD src1_sel:WORD_1
	;; [unrolled: 1-line block ×4, first 2 shown]
	v_fma_f16 v31, v34, v49, -v67
	v_fma_f16 v35, v44, v50, v70
	v_fma_f16 v44, v55, v52, v74
	v_fma_f16 v46, v14, v53, -v75
	v_sub_f16_e32 v14, v45, v47
	v_add_f16_e32 v7, v7, v26
	v_mul_f16_sdwa v68, v34, v49 dst_sel:DWORD dst_unused:UNUSED_PAD src0_sel:DWORD src1_sel:WORD_1
	v_mul_f16_sdwa v72, v16, v51 dst_sel:DWORD dst_unused:UNUSED_PAD src0_sel:DWORD src1_sel:WORD_1
	v_fma_f16 v34, v17, v50, -v69
	v_fma_f16 v36, v16, v51, -v71
	;; [unrolled: 1-line block ×3, first 2 shown]
	v_add_f16_e32 v11, v43, v46
	v_mul_f16_e32 v16, 0xbbf1, v14
	v_add_f16_e32 v7, v7, v31
	v_sub_f16_e32 v50, v42, v44
	v_fma_f16 v32, v32, v49, v68
	v_fma_f16 v37, v54, v51, v72
	v_fma_f16 v18, v11, s8, -v16
	v_fma_f16 v16, v11, s8, v16
	v_add_f16_e32 v7, v7, v34
	v_add_f16_e32 v49, v41, v15
	v_mul_f16_e32 v51, 0xb3a8, v50
	v_mul_f16_e32 v17, 0xbb7b, v14
	v_add_f16_e32 v16, v12, v16
	v_add_f16_e32 v7, v7, v36
	v_fma_f16 v52, v49, s14, -v51
	v_fma_f16 v51, v49, s14, v51
	v_fma_f16 v19, v11, s9, -v17
	v_fma_f16 v17, v11, s9, v17
	v_add_f16_e32 v18, v12, v18
	v_add_f16_e32 v7, v7, v15
	;; [unrolled: 1-line block ×3, first 2 shown]
	v_mul_f16_e32 v51, 0x394e, v50
	v_add_f16_e32 v20, v7, v46
	v_add_f16_e32 v7, v12, v17
	v_mul_f16_e32 v17, 0xb94e, v14
	v_add_f16_e32 v18, v52, v18
	v_fma_f16 v52, v49, s12, -v51
	v_fma_f16 v51, v49, s12, v51
	v_add_f16_e32 v19, v12, v19
	v_fma_f16 v21, v11, s12, -v17
	v_fma_f16 v17, v11, s12, v17
	v_add_f16_e32 v7, v51, v7
	v_mul_f16_e32 v51, 0x3bf1, v50
	v_add_f16_e32 v17, v12, v17
	v_mul_f16_e32 v27, 0xb3a8, v14
	v_add_f16_e32 v19, v52, v19
	v_fma_f16 v52, v49, s8, -v51
	v_fma_f16 v51, v49, s8, v51
	v_fma_f16 v28, v28, v48, v66
	v_add_f16_e32 v21, v12, v21
	v_fma_f16 v48, v11, s14, -v27
	v_add_f16_e32 v17, v51, v17
	v_mul_f16_e32 v51, 0x3770, v50
	v_add_f16_e32 v48, v12, v48
	v_fma_f16 v27, v11, s14, v27
	v_add_f16_e32 v21, v52, v21
	v_fma_f16 v52, v49, s15, -v51
	v_add_f16_e32 v27, v12, v27
	v_add_f16_e32 v48, v52, v48
	v_fma_f16 v51, v49, s15, v51
	v_sub_f16_e32 v52, v40, v37
	v_add_f16_e32 v27, v51, v27
	v_add_f16_e32 v51, v39, v36
	v_mul_f16_e32 v53, 0x3b7b, v52
	v_fma_f16 v54, v51, s9, -v53
	v_fma_f16 v53, v51, s9, v53
	v_add_f16_e32 v16, v53, v16
	v_mul_f16_e32 v53, 0x3770, v52
	v_add_f16_e32 v18, v54, v18
	v_fma_f16 v54, v51, s15, -v53
	v_fma_f16 v53, v51, s15, v53
	v_add_f16_e32 v7, v53, v7
	v_mul_f16_e32 v53, 0xba95, v52
	v_add_f16_e32 v19, v54, v19
	v_fma_f16 v54, v51, s13, -v53
	v_fma_f16 v53, v51, s13, v53
	v_add_f16_e32 v17, v53, v17
	v_mul_f16_e32 v53, 0xb94e, v52
	v_add_f16_e32 v21, v54, v21
	v_fma_f16 v54, v51, s12, -v53
	v_add_f16_e32 v48, v54, v48
	v_fma_f16 v53, v51, s12, v53
	v_sub_f16_e32 v54, v38, v35
	v_add_f16_e32 v27, v53, v27
	v_add_f16_e32 v53, v33, v34
	v_mul_f16_e32 v55, 0x3770, v54
	v_fma_f16 v56, v53, s15, -v55
	v_fma_f16 v55, v53, s15, v55
	v_add_f16_e32 v16, v55, v16
	v_mul_f16_e32 v55, 0xbbf1, v54
	v_add_f16_e32 v18, v56, v18
	v_fma_f16 v56, v53, s8, -v55
	v_fma_f16 v55, v53, s8, v55
	v_add_f16_e32 v7, v55, v7
	v_mul_f16_e32 v55, 0x33a8, v54
	v_add_f16_e32 v19, v56, v19
	v_fma_f16 v56, v53, s14, -v55
	v_fma_f16 v55, v53, s14, v55
	v_add_f16_e32 v17, v55, v17
	v_mul_f16_e32 v55, 0x3a95, v54
	v_add_f16_e32 v21, v56, v21
	v_fma_f16 v56, v53, s13, -v55
	;; [unrolled: 22-line block ×3, first 2 shown]
	v_fma_f16 v7, v55, s9, v7
	v_add_f16_e32 v27, v7, v27
	v_pk_mul_f16 v7, v14, s21 op_sel_hi:[0,1]
	v_pk_fma_f16 v14, v11, s18, v7 op_sel_hi:[0,1,1] neg_lo:[0,0,1] neg_hi:[0,0,1]
	v_pk_fma_f16 v7, v11, s18, v7 op_sel_hi:[0,1,1]
	v_pk_mul_f16 v11, v50, s23 op_sel_hi:[0,1]
	v_add_f16_e32 v60, v12, v14
	v_add_f16_sdwa v14, v12, v14 dst_sel:DWORD dst_unused:UNUSED_PAD src0_sel:DWORD src1_sel:WORD_1
	v_pk_add_f16 v7, v12, v7 op_sel_hi:[0,1]
	v_pk_fma_f16 v12, v49, s19, v11 op_sel_hi:[0,1,1] neg_lo:[0,0,1] neg_hi:[0,0,1]
	v_pk_fma_f16 v11, v49, s19, v11 op_sel_hi:[0,1,1]
	v_pk_add_f16 v7, v11, v7
	v_pk_mul_f16 v11, v52, s25 op_sel_hi:[0,1]
	v_add_f16_e32 v50, v12, v60
	v_add_f16_sdwa v12, v12, v14 dst_sel:DWORD dst_unused:UNUSED_PAD src0_sel:WORD_1 src1_sel:DWORD
	v_pk_fma_f16 v14, v51, s20, v11 op_sel_hi:[0,1,1] neg_lo:[0,0,1] neg_hi:[0,0,1]
	v_pk_fma_f16 v11, v51, s20, v11 op_sel_hi:[0,1,1]
	v_pk_add_f16 v7, v11, v7
	v_pk_mul_f16 v11, v54, s26 op_sel_hi:[0,1]
	v_add_f16_e32 v49, v14, v50
	v_add_f16_sdwa v12, v14, v12 dst_sel:DWORD dst_unused:UNUSED_PAD src0_sel:WORD_1 src1_sel:DWORD
	v_pk_fma_f16 v14, v53, s22, v11 op_sel_hi:[0,1,1] neg_lo:[0,0,1] neg_hi:[0,0,1]
	v_pk_fma_f16 v11, v53, s22, v11 op_sel_hi:[0,1,1]
	v_pk_add_f16 v7, v11, v7
	v_pk_mul_f16 v11, v56, s28 op_sel_hi:[0,1]
	v_sub_f16_e32 v59, v25, v28
	v_add_f16_e32 v49, v14, v49
	v_add_f16_sdwa v12, v14, v12 dst_sel:DWORD dst_unused:UNUSED_PAD src0_sel:WORD_1 src1_sel:DWORD
	v_pk_fma_f16 v14, v55, s24, v11 op_sel_hi:[0,1,1] neg_lo:[0,0,1] neg_hi:[0,0,1]
	v_pk_fma_f16 v11, v55, s24, v11 op_sel_hi:[0,1,1]
	v_add_f16_e32 v48, v58, v48
	v_add_f16_e32 v58, v23, v26
	v_pk_add_f16 v7, v11, v7
	v_pk_mul_f16 v11, v59, s29 op_sel_hi:[0,1]
	v_add_f16_e32 v49, v14, v49
	v_add_f16_sdwa v12, v14, v12 dst_sel:DWORD dst_unused:UNUSED_PAD src0_sel:WORD_1 src1_sel:DWORD
	v_pk_fma_f16 v14, v58, s27, v11 op_sel_hi:[0,1,1] neg_lo:[0,0,1] neg_hi:[0,0,1]
	v_pk_fma_f16 v11, v58, s27, v11 op_sel_hi:[0,1,1]
	v_pk_add_f16 v11, v11, v7
	v_mul_f16_e32 v7, 0xb94e, v59
	v_add_f16_e32 v49, v14, v49
	v_add_f16_sdwa v12, v14, v12 dst_sel:DWORD dst_unused:UNUSED_PAD src0_sel:WORD_1 src1_sel:DWORD
	v_fma_f16 v14, v58, s12, -v7
	v_fma_f16 v7, v58, s12, v7
	v_add_f16_e32 v7, v7, v16
	v_mul_f16_e32 v16, 0x3a95, v59
	v_add_f16_e32 v14, v14, v18
	v_fma_f16 v18, v58, s13, -v16
	v_add_f16_e32 v18, v18, v19
	v_mul_f16_e32 v19, 0xbb7b, v59
	v_fma_f16 v50, v58, s9, -v19
	v_fma_f16 v19, v58, s9, v19
	v_add_f16_e32 v17, v19, v17
	v_mul_f16_e32 v19, 0x3bf1, v59
	v_add_f16_e32 v21, v50, v21
	v_fma_f16 v50, v58, s8, -v19
	v_fma_f16 v19, v58, s8, v19
	v_add_f16_e32 v19, v19, v27
	v_mov_b32_e32 v27, 1
	v_fma_f16 v16, v58, s13, v16
	v_lshlrev_b32_sdwa v24, v27, v24 dst_sel:DWORD dst_unused:UNUSED_PAD src0_sel:DWORD src1_sel:BYTE_0
	v_add_f16_e32 v16, v16, v57
	v_add3_u32 v8, v22, v24, v8
	v_add_f16_e32 v48, v50, v48
	ds_write_b16 v8, v20
	ds_write_b16 v8, v49 offset:34
	ds_write_b16 v8, v12 offset:68
	;; [unrolled: 1-line block ×10, first 2 shown]
	ds_write_b16_d16_hi v8, v11 offset:374
	ds_write_b16 v8, v11 offset:408
	s_waitcnt lgkmcnt(0)
	s_barrier
	ds_read_u16 v14, v9
	ds_read_u16 v21, v1 offset:1496
	ds_read_u16 v16, v1 offset:1326
	ds_read_u16 v22, v1 offset:1054
	ds_read_u16 v19, v1 offset:884
	ds_read_u16 v24, v1 offset:612
	ds_read_u16 v17, v1 offset:442
	ds_read_u16 v20, v1 offset:170
	ds_read_u16 v18, v1 offset:1768
	ds_read_u16 v27, v1 offset:1938
	s_and_saveexec_b64 s[6:7], s[0:1]
	s_cbranch_execz .LBB0_16
; %bb.15:
	ds_read_u16 v0, v1 offset:1666
	ds_read_u16 v11, v1 offset:2108
	ds_read_u16 v12, v1 offset:782
	ds_read_u16 v48, v1 offset:1224
	ds_read_u16 v7, v1 offset:340
	s_mov_b32 s30, 0x5040100
	s_waitcnt lgkmcnt(3)
	v_perm_b32 v0, v11, v0, s30
	s_waitcnt lgkmcnt(1)
	v_perm_b32 v11, v12, v48, s30
.LBB0_16:
	s_or_b64 exec, exec, s[6:7]
	v_add_f16_e32 v12, v13, v45
	v_add_f16_e32 v12, v12, v42
	;; [unrolled: 1-line block ×11, first 2 shown]
	v_sub_f16_e32 v43, v43, v46
	v_add_f16_e32 v48, v12, v47
	v_add_f16_e32 v12, v45, v47
	v_mul_f16_e32 v45, 0xbbf1, v43
	v_sub_f16_e32 v15, v41, v15
	v_fma_f16 v46, v12, s8, v45
	v_fma_f16 v45, v12, s8, -v45
	v_add_f16_e32 v42, v42, v44
	v_mul_f16_e32 v41, 0xb3a8, v15
	v_add_f16_e32 v45, v13, v45
	v_mul_f16_e32 v47, 0xbb7b, v43
	v_fma_f16 v44, v42, s14, v41
	v_fma_f16 v41, v42, s14, -v41
	v_add_f16_e32 v46, v13, v46
	v_fma_f16 v49, v12, s9, v47
	v_fma_f16 v47, v12, s9, -v47
	v_add_f16_e32 v41, v41, v45
	v_mul_f16_e32 v45, 0x394e, v15
	v_add_f16_e32 v47, v13, v47
	v_mul_f16_e32 v50, 0xb94e, v43
	v_mul_f16_e32 v52, 0xb3a8, v43
	v_add_f16_e32 v44, v44, v46
	v_fma_f16 v46, v42, s12, v45
	v_fma_f16 v45, v42, s12, -v45
	v_sub_f16_e32 v23, v23, v26
	v_pk_mul_f16 v26, v43, s21 op_sel_hi:[0,1]
	v_add_f16_e32 v49, v13, v49
	v_fma_f16 v51, v12, s12, v50
	v_fma_f16 v50, v12, s12, -v50
	v_fma_f16 v53, v12, s14, v52
	v_fma_f16 v52, v12, s14, -v52
	v_add_f16_e32 v45, v45, v47
	v_mul_f16_e32 v47, 0x3bf1, v15
	v_add_f16_e32 v25, v25, v28
	v_pk_fma_f16 v28, v12, s18, v26 op_sel_hi:[0,1,1]
	v_pk_fma_f16 v12, v12, s18, v26 op_sel_hi:[0,1,1] neg_lo:[0,0,1] neg_hi:[0,0,1]
	v_add_f16_e32 v51, v13, v51
	v_add_f16_e32 v50, v13, v50
	;; [unrolled: 1-line block ×5, first 2 shown]
	v_fma_f16 v49, v42, s8, v47
	v_fma_f16 v47, v42, s8, -v47
	v_add_f16_e32 v43, v13, v28
	v_add_f16_sdwa v28, v13, v28 dst_sel:DWORD dst_unused:UNUSED_PAD src0_sel:DWORD src1_sel:WORD_1
	v_pk_add_f16 v12, v13, v12 op_sel_hi:[0,1]
	v_pk_mul_f16 v13, v15, s23 op_sel_hi:[0,1]
	v_add_f16_e32 v47, v47, v50
	v_mul_f16_e32 v50, 0x3770, v15
	v_sub_f16_e32 v36, v39, v36
	v_pk_fma_f16 v15, v42, s19, v13 op_sel_hi:[0,1,1]
	v_pk_fma_f16 v13, v42, s19, v13 op_sel_hi:[0,1,1] neg_lo:[0,0,1] neg_hi:[0,0,1]
	v_add_f16_e32 v37, v40, v37
	v_pk_add_f16 v12, v13, v12
	v_pk_mul_f16 v13, v36, s25 op_sel_hi:[0,1]
	v_mul_f16_e32 v39, 0x3b7b, v36
	v_sub_f16_e32 v33, v33, v34
	v_add_f16_e32 v26, v15, v43
	v_add_f16_sdwa v15, v15, v28 dst_sel:DWORD dst_unused:UNUSED_PAD src0_sel:WORD_1 src1_sel:DWORD
	v_pk_fma_f16 v28, v37, s20, v13 op_sel_hi:[0,1,1]
	v_pk_fma_f16 v13, v37, s20, v13 op_sel_hi:[0,1,1] neg_lo:[0,0,1] neg_hi:[0,0,1]
	v_fma_f16 v40, v37, s9, v39
	v_fma_f16 v39, v37, s9, -v39
	v_add_f16_e32 v35, v38, v35
	v_mul_f16_e32 v34, 0x3770, v33
	v_sub_f16_e32 v29, v29, v31
	v_pk_add_f16 v12, v13, v12
	v_pk_mul_f16 v13, v33, s26 op_sel_hi:[0,1]
	v_add_f16_e32 v39, v39, v41
	v_mul_f16_e32 v41, 0x3770, v36
	v_fma_f16 v38, v35, s15, v34
	v_fma_f16 v34, v35, s15, -v34
	v_add_f16_e32 v30, v30, v32
	v_mul_f16_e32 v31, 0xba95, v29
	v_add_f16_e32 v26, v28, v26
	v_add_f16_sdwa v15, v28, v15 dst_sel:DWORD dst_unused:UNUSED_PAD src0_sel:WORD_1 src1_sel:DWORD
	v_pk_fma_f16 v28, v35, s22, v13 op_sel_hi:[0,1,1]
	v_pk_fma_f16 v13, v35, s22, v13 op_sel_hi:[0,1,1] neg_lo:[0,0,1] neg_hi:[0,0,1]
	v_add_f16_e32 v40, v40, v44
	v_fma_f16 v44, v37, s15, v41
	v_fma_f16 v41, v37, s15, -v41
	v_add_f16_e32 v34, v34, v39
	v_mul_f16_e32 v39, 0xbbf1, v33
	v_fma_f16 v32, v30, s13, v31
	v_fma_f16 v31, v30, s13, -v31
	v_pk_add_f16 v12, v13, v12
	v_pk_mul_f16 v13, v29, s28 op_sel_hi:[0,1]
	v_add_f16_e32 v41, v41, v45
	v_mul_f16_e32 v45, 0xba95, v36
	v_add_f16_e32 v38, v38, v40
	v_fma_f16 v40, v35, s8, v39
	v_fma_f16 v39, v35, s8, -v39
	v_add_f16_e32 v31, v31, v34
	v_mul_f16_e32 v34, 0x33a8, v29
	v_add_f16_e32 v26, v28, v26
	v_add_f16_sdwa v15, v28, v15 dst_sel:DWORD dst_unused:UNUSED_PAD src0_sel:WORD_1 src1_sel:DWORD
	v_pk_fma_f16 v28, v30, s24, v13 op_sel_hi:[0,1,1]
	v_pk_fma_f16 v13, v30, s24, v13 op_sel_hi:[0,1,1] neg_lo:[0,0,1] neg_hi:[0,0,1]
	v_add_f16_e32 v44, v44, v46
	v_fma_f16 v46, v37, s13, v45
	v_fma_f16 v45, v37, s13, -v45
	v_add_f16_e32 v39, v39, v41
	v_mul_f16_e32 v41, 0x33a8, v33
	v_add_f16_e32 v32, v32, v38
	v_fma_f16 v38, v30, s14, v34
	v_fma_f16 v34, v30, s14, -v34
	v_pk_add_f16 v12, v13, v12
	v_pk_mul_f16 v13, v23, s29 op_sel_hi:[0,1]
	v_add_f16_e32 v49, v49, v51
	v_fma_f16 v51, v42, s15, v50
	v_fma_f16 v50, v42, s15, -v50
	v_add_f16_e32 v45, v45, v47
	v_mul_f16_e32 v47, 0xb94e, v36
	v_add_f16_e32 v40, v40, v44
	v_fma_f16 v44, v35, s14, v41
	v_fma_f16 v41, v35, s14, -v41
	v_add_f16_e32 v34, v34, v39
	v_mul_f16_e32 v39, 0x3770, v29
	v_add_f16_e32 v26, v28, v26
	v_add_f16_sdwa v15, v28, v15 dst_sel:DWORD dst_unused:UNUSED_PAD src0_sel:WORD_1 src1_sel:DWORD
	v_pk_fma_f16 v28, v25, s27, v13 op_sel_hi:[0,1,1]
	v_pk_fma_f16 v13, v25, s27, v13 op_sel_hi:[0,1,1] neg_lo:[0,0,1] neg_hi:[0,0,1]
	v_add_f16_e32 v51, v51, v53
	v_add_f16_e32 v50, v50, v52
	;; [unrolled: 1-line block ×3, first 2 shown]
	v_fma_f16 v49, v37, s12, v47
	v_fma_f16 v47, v37, s12, -v47
	v_add_f16_e32 v41, v41, v45
	v_mul_f16_e32 v45, 0x3a95, v33
	v_add_f16_e32 v38, v38, v40
	v_fma_f16 v40, v30, s15, v39
	v_fma_f16 v39, v30, s15, -v39
	v_pk_add_f16 v13, v13, v12
	v_mul_f16_e32 v12, 0xb94e, v23
	v_add_f16_e32 v49, v49, v51
	v_add_f16_e32 v47, v47, v50
	;; [unrolled: 1-line block ×3, first 2 shown]
	v_fma_f16 v46, v35, s13, v45
	v_fma_f16 v45, v35, s13, -v45
	v_add_f16_e32 v39, v39, v41
	v_mul_f16_e32 v41, 0xbb7b, v29
	v_add_f16_e32 v26, v28, v26
	v_add_f16_sdwa v15, v28, v15 dst_sel:DWORD dst_unused:UNUSED_PAD src0_sel:WORD_1 src1_sel:DWORD
	v_fma_f16 v28, v25, s12, v12
	v_fma_f16 v12, v25, s12, -v12
	v_add_f16_e32 v46, v46, v49
	v_add_f16_e32 v45, v45, v47
	;; [unrolled: 1-line block ×3, first 2 shown]
	v_fma_f16 v44, v30, s9, v41
	v_fma_f16 v41, v30, s9, -v41
	v_add_f16_e32 v12, v12, v31
	v_mul_f16_e32 v29, 0x3a95, v23
	v_mul_f16_e32 v31, 0xbb7b, v23
	;; [unrolled: 1-line block ×3, first 2 shown]
	v_add_f16_e32 v44, v44, v46
	v_add_f16_e32 v41, v41, v45
	;; [unrolled: 1-line block ×3, first 2 shown]
	v_fma_f16 v30, v25, s13, v29
	v_fma_f16 v29, v25, s13, -v29
	v_fma_f16 v32, v25, s9, v31
	v_fma_f16 v31, v25, s9, -v31
	;; [unrolled: 2-line block ×3, first 2 shown]
	v_add_f16_e32 v30, v30, v38
	v_add_f16_e32 v29, v29, v34
	;; [unrolled: 1-line block ×6, first 2 shown]
	s_waitcnt lgkmcnt(0)
	s_barrier
	ds_write_b16 v8, v48
	ds_write_b16 v8, v26 offset:34
	ds_write_b16 v8, v15 offset:68
	;; [unrolled: 1-line block ×10, first 2 shown]
	v_lshrrev_b32_e32 v15, 16, v13
	ds_write_b16 v8, v15 offset:374
	ds_write_b16 v8, v13 offset:408
	s_waitcnt lgkmcnt(0)
	s_barrier
	ds_read_u16 v23, v9
	ds_read_u16 v31, v1 offset:1496
	ds_read_u16 v25, v1 offset:1326
	;; [unrolled: 1-line block ×9, first 2 shown]
	s_and_saveexec_b64 s[6:7], s[0:1]
	s_cbranch_execz .LBB0_18
; %bb.17:
	ds_read_u16 v6, v1 offset:1666
	ds_read_u16 v8, v1 offset:2108
	ds_read_u16 v12, v1 offset:340
	ds_read_u16 v15, v1 offset:782
	ds_read_u16 v13, v1 offset:1224
	s_mov_b32 s8, 0x5040100
	s_waitcnt lgkmcnt(3)
	v_perm_b32 v6, v8, v6, s8
.LBB0_18:
	s_or_b64 exec, exec, s[6:7]
	s_and_saveexec_b64 s[6:7], vcc
	s_cbranch_execz .LBB0_21
; %bb.19:
	v_add_u32_e32 v1, 0x55, v10
	v_lshlrev_b32_e32 v8, 2, v1
	v_mov_b32_e32 v9, 0
	v_lshl_add_u64 v[36:37], v[8:9], 2, s[4:5]
	global_load_dwordx4 v[36:39], v[36:37], off offset:816
	v_lshlrev_b32_e32 v8, 2, v10
	v_lshl_add_u64 v[40:41], v[8:9], 2, s[4:5]
	global_load_dwordx4 v[40:43], v[40:41], off offset:816
	v_mul_lo_u32 v35, s3, v4
	v_mul_lo_u32 v44, s2, v5
	v_mad_u64_u32 v[4:5], s[2:3], s2, v4, 0
	v_add3_u32 v5, v5, v44, v35
	s_mov_b32 s7, 0xbb9c
	s_movk_i32 s8, 0x3b9c
	s_movk_i32 s3, 0x38b4
	s_mov_b32 s6, 0xb8b4
	s_movk_i32 s2, 0x34f2
	v_lshl_add_u64 v[4:5], v[4:5], 2, s[10:11]
	v_lshl_add_u64 v[2:3], v[2:3], 2, v[4:5]
	s_movk_i32 s9, 0x374
	s_waitcnt vmcnt(1)
	v_mul_f16_sdwa v8, v22, v37 dst_sel:DWORD dst_unused:UNUSED_PAD src0_sel:DWORD src1_sel:WORD_1
	v_mul_f16_sdwa v35, v24, v36 dst_sel:DWORD dst_unused:UNUSED_PAD src0_sel:DWORD src1_sel:WORD_1
	;; [unrolled: 1-line block ×4, first 2 shown]
	s_waitcnt lgkmcnt(4)
	v_mul_f16_sdwa v46, v33, v36 dst_sel:DWORD dst_unused:UNUSED_PAD src0_sel:DWORD src1_sel:WORD_1
	s_waitcnt lgkmcnt(0)
	v_mul_f16_sdwa v47, v34, v39 dst_sel:DWORD dst_unused:UNUSED_PAD src0_sel:DWORD src1_sel:WORD_1
	v_mul_f16_sdwa v48, v32, v37 dst_sel:DWORD dst_unused:UNUSED_PAD src0_sel:DWORD src1_sel:WORD_1
	;; [unrolled: 1-line block ×3, first 2 shown]
	v_fma_f16 v8, v32, v37, v8
	v_fma_f16 v32, v33, v36, v35
	;; [unrolled: 1-line block ×4, first 2 shown]
	v_fma_f16 v24, v24, v36, -v46
	v_fma_f16 v27, v27, v39, -v47
	;; [unrolled: 1-line block ×4, first 2 shown]
	v_sub_f16_e32 v34, v8, v32
	v_sub_f16_e32 v35, v31, v33
	;; [unrolled: 1-line block ×3, first 2 shown]
	v_add_f16_e32 v37, v32, v33
	v_sub_f16_e32 v39, v22, v24
	v_sub_f16_e32 v44, v21, v27
	v_add_f16_e32 v45, v24, v27
	v_sub_f16_e32 v47, v32, v33
	v_sub_f16_e32 v48, v32, v8
	v_add_f16_e32 v50, v8, v31
	v_sub_f16_e32 v51, v24, v22
	v_add_f16_e32 v32, v30, v32
	v_add_f16_e32 v24, v20, v24
	v_sub_f16_e32 v38, v22, v21
	v_sub_f16_e32 v46, v8, v31
	;; [unrolled: 1-line block ×3, first 2 shown]
	v_add_f16_e32 v53, v22, v21
	v_add_f16_e32 v34, v34, v35
	v_fma_f16 v35, v37, -0.5, v30
	v_add_f16_e32 v37, v39, v44
	v_fma_f16 v39, v45, -0.5, v20
	v_fma_f16 v30, v50, -0.5, v30
	v_add_f16_e32 v8, v8, v32
	v_add_f16_e32 v22, v22, v24
	v_sub_f16_e32 v52, v27, v21
	v_add_f16_e32 v44, v48, v49
	v_fma_f16 v24, v38, s7, v35
	v_fma_f16 v32, v46, s8, v39
	;; [unrolled: 1-line block ×5, first 2 shown]
	v_add_f16_e32 v8, v31, v8
	v_add_f16_e32 v21, v22, v21
	v_fma_f16 v22, v36, s8, v30
	v_fma_f16 v20, v53, -0.5, v20
	v_fma_f16 v24, v36, s3, v24
	v_fma_f16 v30, v47, s6, v32
	v_fma_f16 v31, v36, s6, v35
	v_fma_f16 v32, v47, s3, v39
	v_fma_f16 v35, v38, s6, v48
	v_add_f16_e32 v33, v8, v33
	v_fma_f16 v8, v38, s3, v22
	v_fma_f16 v49, v47, s8, v20
	;; [unrolled: 1-line block ×3, first 2 shown]
	v_add_f16_e32 v21, v21, v27
	v_fma_f16 v22, v34, s2, v24
	v_fma_f16 v24, v37, s2, v30
	v_fma_f16 v27, v34, s2, v31
	v_fma_f16 v30, v37, s2, v32
	v_fma_f16 v31, v44, s2, v35
	v_fma_f16 v34, v44, s2, v8
	s_waitcnt vmcnt(0)
	v_mul_f16_sdwa v8, v17, v40 dst_sel:DWORD dst_unused:UNUSED_PAD src0_sel:DWORD src1_sel:WORD_1
	v_mul_f16_sdwa v35, v19, v41 dst_sel:DWORD dst_unused:UNUSED_PAD src0_sel:DWORD src1_sel:WORD_1
	;; [unrolled: 1-line block ×4, first 2 shown]
	v_add_f16_e32 v45, v51, v52
	v_fma_f16 v36, v46, s3, v49
	v_fma_f16 v20, v46, s6, v20
	;; [unrolled: 1-line block ×8, first 2 shown]
	v_mul_f16_sdwa v29, v29, v41 dst_sel:DWORD dst_unused:UNUSED_PAD src0_sel:DWORD src1_sel:WORD_1
	v_sub_f16_e32 v44, v35, v8
	v_sub_f16_e32 v45, v38, v37
	;; [unrolled: 1-line block ×3, first 2 shown]
	v_fma_f16 v19, v19, v41, -v29
	v_sub_f16_e32 v41, v8, v37
	v_add_f16_e32 v44, v44, v45
	v_add_f16_e32 v45, v8, v37
	;; [unrolled: 1-line block ×3, first 2 shown]
	v_mul_f16_sdwa v26, v26, v40 dst_sel:DWORD dst_unused:UNUSED_PAD src0_sel:DWORD src1_sel:WORD_1
	v_add_f16_e32 v8, v8, v35
	v_mul_f16_sdwa v25, v25, v42 dst_sel:DWORD dst_unused:UNUSED_PAD src0_sel:DWORD src1_sel:WORD_1
	v_fma_f16 v17, v17, v40, -v26
	v_mul_f16_sdwa v26, v28, v43 dst_sel:DWORD dst_unused:UNUSED_PAD src0_sel:DWORD src1_sel:WORD_1
	v_add_f16_e32 v28, v35, v38
	v_add_f16_e32 v8, v8, v38
	v_sub_f16_e32 v39, v37, v38
	v_fma_f16 v16, v16, v42, -v25
	v_fma_f16 v18, v18, v43, -v26
	v_fma_f16 v28, v28, -0.5, v23
	v_fma_f16 v45, v45, -0.5, v23
	v_add_f16_e32 v23, v37, v8
	v_add_f16_e32 v8, v14, v17
	;; [unrolled: 1-line block ×3, first 2 shown]
	v_sub_f16_e32 v39, v17, v19
	v_sub_f16_e32 v40, v18, v16
	;; [unrolled: 1-line block ×4, first 2 shown]
	v_add_f16_e32 v8, v8, v19
	v_sub_f16_e32 v25, v19, v16
	v_sub_f16_e32 v26, v17, v18
	v_add_f16_e32 v39, v39, v40
	v_add_f16_e32 v40, v19, v16
	;; [unrolled: 1-line block ×5, first 2 shown]
	v_mad_u64_u32 v[16:17], s[12:13], s16, v10, 0
	v_fma_f16 v40, v40, -0.5, v14
	v_fma_f16 v48, v48, -0.5, v14
	v_add_f16_e32 v14, v18, v8
	v_mov_b32_e32 v8, v17
	v_mad_u64_u32 v[18:19], s[12:13], s17, v10, v[8:9]
	v_mov_b32_e32 v17, v18
	v_fma_f16 v46, v25, s7, v45
	v_fma_f16 v45, v25, s8, v45
	v_lshl_add_u64 v[4:5], v[16:17], 2, v[2:3]
	v_pack_b32_f16 v8, v14, v23
	v_add_u32_e32 v14, 0xdd, v10
	v_fma_f16 v29, v26, s8, v28
	v_fma_f16 v46, v26, s3, v46
	;; [unrolled: 1-line block ×4, first 2 shown]
	global_store_dword v[4:5], v8, off
	v_mad_u64_u32 v[4:5], s[10:11], s16, v14, 0
	v_fma_f16 v29, v25, s3, v29
	v_sub_f16_e32 v43, v35, v38
	v_fma_f16 v25, v25, s6, v26
	v_fma_f16 v26, v41, s8, v40
	v_mov_b32_e32 v8, v5
	v_fma_f16 v26, v43, s3, v26
	v_mad_u64_u32 v[16:17], s[10:11], s17, v14, v[8:9]
	v_fma_f16 v25, v36, s2, v25
	v_fma_f16 v26, v39, s2, v26
	v_mov_b32_e32 v5, v16
	v_lshl_add_u64 v[4:5], v[4:5], 2, v[2:3]
	v_pack_b32_f16 v8, v26, v25
	v_add_u32_e32 v14, 0x1ba, v10
	global_store_dword v[4:5], v8, off
	v_mad_u64_u32 v[4:5], s[10:11], s16, v14, 0
	v_fma_f16 v46, v44, s2, v46
	v_fma_f16 v44, v44, s2, v45
	;; [unrolled: 1-line block ×3, first 2 shown]
	v_mov_b32_e32 v8, v5
	v_fma_f16 v45, v41, s3, v45
	v_mad_u64_u32 v[16:17], s[10:11], s17, v14, v[8:9]
	v_fma_f16 v45, v47, s2, v45
	v_mov_b32_e32 v5, v16
	v_lshl_add_u64 v[4:5], v[4:5], 2, v[2:3]
	v_pack_b32_f16 v8, v45, v44
	v_add_u32_e32 v14, 0x297, v10
	global_store_dword v[4:5], v8, off
	v_mad_u64_u32 v[4:5], s[10:11], s16, v14, 0
	v_fma_f16 v49, v43, s8, v48
	v_mov_b32_e32 v8, v5
	v_fma_f16 v49, v41, s6, v49
	v_mad_u64_u32 v[16:17], s[10:11], s17, v14, v[8:9]
	v_fma_f16 v49, v47, s2, v49
	v_mov_b32_e32 v5, v16
	v_lshl_add_u64 v[4:5], v[4:5], 2, v[2:3]
	v_pack_b32_f16 v8, v49, v46
	v_add_u32_e32 v14, 0x374, v10
	global_store_dword v[4:5], v8, off
	v_mad_u64_u32 v[4:5], s[10:11], s16, v14, 0
	v_fma_f16 v42, v41, s7, v40
	v_mov_b32_e32 v8, v5
	v_fma_f16 v42, v43, s6, v42
	v_mad_u64_u32 v[16:17], s[10:11], s17, v14, v[8:9]
	v_fma_f16 v29, v36, s2, v29
	v_fma_f16 v42, v39, s2, v42
	v_mov_b32_e32 v5, v16
	v_lshl_add_u64 v[4:5], v[4:5], 2, v[2:3]
	v_pack_b32_f16 v8, v42, v29
	s_mov_b32 s10, 0x288b0129
	global_store_dword v[4:5], v8, off
	v_mul_hi_u32 v4, v1, s10
	v_sub_u32_e32 v5, v1, v4
	v_lshrrev_b32_e32 v5, 1, v5
	v_add_u32_e32 v4, v5, v4
	v_lshrrev_b32_e32 v4, 7, v4
	v_mad_u32_u24 v1, v4, s9, v1
	v_mad_u64_u32 v[4:5], s[10:11], s16, v1, 0
	v_mov_b32_e32 v8, v5
	v_mad_u64_u32 v[16:17], s[10:11], s17, v1, v[8:9]
	v_mov_b32_e32 v5, v16
	v_lshl_add_u64 v[4:5], v[4:5], 2, v[2:3]
	v_pack_b32_f16 v8, v21, v33
	v_add_u32_e32 v14, 0xdd, v1
	global_store_dword v[4:5], v8, off
	v_mad_u64_u32 v[4:5], s[10:11], s16, v14, 0
	v_mov_b32_e32 v8, v5
	v_mad_u64_u32 v[16:17], s[10:11], s17, v14, v[8:9]
	v_mov_b32_e32 v5, v16
	v_lshl_add_u64 v[4:5], v[4:5], 2, v[2:3]
	v_pack_b32_f16 v8, v32, v31
	v_add_u32_e32 v14, 0x1ba, v1
	global_store_dword v[4:5], v8, off
	;; [unrolled: 8-line block ×4, first 2 shown]
	v_mad_u64_u32 v[4:5], s[10:11], s16, v1, 0
	v_mov_b32_e32 v8, v5
	v_mad_u64_u32 v[16:17], s[10:11], s17, v1, v[8:9]
	v_mov_b32_e32 v5, v16
	v_lshl_add_u64 v[4:5], v[4:5], 2, v[2:3]
	v_pack_b32_f16 v1, v20, v34
	global_store_dword v[4:5], v1, off
	s_and_b64 exec, exec, s[0:1]
	s_cbranch_execz .LBB0_21
; %bb.20:
	v_add_u32_e32 v1, 0xaa, v10
	v_subrev_u32_e32 v4, 51, v10
	v_cndmask_b32_e64 v4, v4, v1, s[0:1]
	v_lshlrev_b32_e32 v8, 2, v4
	v_lshl_add_u64 v[4:5], v[8:9], 2, s[4:5]
	global_load_dwordx4 v[16:19], v[4:5], off offset:816
	v_mad_u64_u32 v[4:5], s[0:1], s16, v1, 0
	v_mov_b32_e32 v8, v5
	v_lshrrev_b32_e32 v14, 16, v11
	v_mad_u64_u32 v[8:9], s[0:1], s17, v1, v[8:9]
	v_lshrrev_b32_e32 v20, 16, v0
	v_lshrrev_b32_e32 v21, 16, v6
	v_mov_b32_e32 v5, v8
	v_add_u32_e32 v22, 0x187, v10
	v_lshl_add_u64 v[4:5], v[4:5], 2, v[2:3]
	s_waitcnt vmcnt(0)
	v_mul_f16_sdwa v1, v15, v16 dst_sel:DWORD dst_unused:UNUSED_PAD src0_sel:DWORD src1_sel:WORD_1
	v_mul_f16_sdwa v8, v14, v16 dst_sel:DWORD dst_unused:UNUSED_PAD src0_sel:DWORD src1_sel:WORD_1
	;; [unrolled: 1-line block ×8, first 2 shown]
	v_fma_f16 v1, v14, v16, -v1
	v_fma_f16 v8, v15, v16, v8
	v_fma_f16 v9, v11, v17, -v9
	v_fma_f16 v11, v13, v17, v23
	;; [unrolled: 2-line block ×4, first 2 shown]
	v_add_f16_e32 v15, v7, v1
	v_add_f16_e32 v25, v12, v8
	;; [unrolled: 1-line block ×3, first 2 shown]
	v_sub_f16_e32 v17, v8, v14
	v_sub_f16_e32 v18, v11, v6
	v_sub_f16_e32 v19, v1, v9
	v_sub_f16_e32 v20, v13, v0
	v_add_f16_e32 v21, v1, v13
	v_sub_f16_e32 v23, v9, v1
	v_add_f16_e32 v26, v11, v6
	v_sub_f16_e32 v27, v9, v0
	v_sub_f16_e32 v28, v8, v11
	v_add_f16_e32 v30, v8, v14
	v_sub_f16_e32 v8, v11, v8
	v_add_f16_e32 v9, v15, v9
	v_add_f16_e32 v11, v25, v11
	v_sub_f16_e32 v24, v0, v13
	v_sub_f16_e32 v29, v14, v6
	;; [unrolled: 1-line block ×3, first 2 shown]
	v_fma_f16 v15, v16, -0.5, v7
	v_add_f16_e32 v16, v19, v20
	v_fma_f16 v7, v21, -0.5, v7
	v_fma_f16 v20, v26, -0.5, v12
	;; [unrolled: 1-line block ×3, first 2 shown]
	v_add_f16_e32 v0, v9, v0
	v_add_f16_e32 v6, v11, v6
	v_sub_f16_e32 v1, v1, v13
	v_add_f16_e32 v19, v23, v24
	v_fma_f16 v9, v17, s8, v15
	v_fma_f16 v15, v17, s7, v15
	;; [unrolled: 1-line block ×6, first 2 shown]
	v_add_f16_e32 v0, v0, v13
	v_add_f16_e32 v6, v6, v14
	;; [unrolled: 1-line block ×3, first 2 shown]
	v_fma_f16 v11, v1, s7, v20
	v_fma_f16 v20, v1, s8, v20
	;; [unrolled: 1-line block ×7, first 2 shown]
	v_pack_b32_f16 v0, v0, v6
	v_fma_f16 v12, v16, s2, v13
	v_fma_f16 v13, v19, s2, v15
	;; [unrolled: 1-line block ×4, first 2 shown]
	global_store_dword v[4:5], v0, off
	v_mad_u64_u32 v[0:1], s[0:1], s16, v22, 0
	v_mov_b32_e32 v4, v1
	v_add_f16_e32 v21, v28, v29
	v_fma_f16 v9, v18, s3, v9
	v_fma_f16 v11, v27, s6, v11
	v_mad_u64_u32 v[4:5], s[0:1], s17, v22, v[4:5]
	v_fma_f16 v9, v16, s2, v9
	v_fma_f16 v11, v21, s2, v11
	v_mov_b32_e32 v1, v4
	v_lshl_add_u64 v[0:1], v[0:1], 2, v[2:3]
	v_pack_b32_f16 v4, v9, v11
	v_add_u32_e32 v5, 0x264, v10
	global_store_dword v[0:1], v4, off
	v_mad_u64_u32 v[0:1], s[0:1], s16, v5, 0
	v_mov_b32_e32 v4, v1
	v_mad_u64_u32 v[4:5], s[0:1], s17, v5, v[4:5]
	v_mov_b32_e32 v1, v4
	v_lshl_add_u64 v[0:1], v[0:1], 2, v[2:3]
	v_pack_b32_f16 v4, v13, v15
	v_add_u32_e32 v5, 0x341, v10
	global_store_dword v[0:1], v4, off
	v_mad_u64_u32 v[0:1], s[0:1], s16, v5, 0
	v_mov_b32_e32 v4, v1
	v_mad_u64_u32 v[4:5], s[0:1], s17, v5, v[4:5]
	v_fma_f16 v7, v19, s2, v7
	v_mov_b32_e32 v1, v4
	v_lshl_add_u64 v[0:1], v[0:1], 2, v[2:3]
	v_pack_b32_f16 v4, v7, v8
	v_add_u32_e32 v5, 0x41e, v10
	global_store_dword v[0:1], v4, off
	v_mad_u64_u32 v[0:1], s[0:1], s16, v5, 0
	v_mov_b32_e32 v4, v1
	v_fma_f16 v14, v27, s3, v20
	v_mad_u64_u32 v[4:5], s[0:1], s17, v5, v[4:5]
	v_fma_f16 v14, v21, s2, v14
	v_mov_b32_e32 v1, v4
	v_lshl_add_u64 v[0:1], v[0:1], 2, v[2:3]
	v_pack_b32_f16 v2, v12, v14
	global_store_dword v[0:1], v2, off
.LBB0_21:
	s_endpgm
	.section	.rodata,"a",@progbits
	.p2align	6, 0x0
	.amdhsa_kernel fft_rtc_fwd_len1105_factors_17_13_5_wgs_255_tpt_85_halfLds_half_op_CI_CI_sbrr_dirReg
		.amdhsa_group_segment_fixed_size 0
		.amdhsa_private_segment_fixed_size 0
		.amdhsa_kernarg_size 104
		.amdhsa_user_sgpr_count 2
		.amdhsa_user_sgpr_dispatch_ptr 0
		.amdhsa_user_sgpr_queue_ptr 0
		.amdhsa_user_sgpr_kernarg_segment_ptr 1
		.amdhsa_user_sgpr_dispatch_id 0
		.amdhsa_user_sgpr_kernarg_preload_length 0
		.amdhsa_user_sgpr_kernarg_preload_offset 0
		.amdhsa_user_sgpr_private_segment_size 0
		.amdhsa_uses_dynamic_stack 0
		.amdhsa_enable_private_segment 0
		.amdhsa_system_sgpr_workgroup_id_x 1
		.amdhsa_system_sgpr_workgroup_id_y 0
		.amdhsa_system_sgpr_workgroup_id_z 0
		.amdhsa_system_sgpr_workgroup_info 0
		.amdhsa_system_vgpr_workitem_id 0
		.amdhsa_next_free_vgpr 105
		.amdhsa_next_free_sgpr 55
		.amdhsa_accum_offset 108
		.amdhsa_reserve_vcc 1
		.amdhsa_float_round_mode_32 0
		.amdhsa_float_round_mode_16_64 0
		.amdhsa_float_denorm_mode_32 3
		.amdhsa_float_denorm_mode_16_64 3
		.amdhsa_dx10_clamp 1
		.amdhsa_ieee_mode 1
		.amdhsa_fp16_overflow 0
		.amdhsa_tg_split 0
		.amdhsa_exception_fp_ieee_invalid_op 0
		.amdhsa_exception_fp_denorm_src 0
		.amdhsa_exception_fp_ieee_div_zero 0
		.amdhsa_exception_fp_ieee_overflow 0
		.amdhsa_exception_fp_ieee_underflow 0
		.amdhsa_exception_fp_ieee_inexact 0
		.amdhsa_exception_int_div_zero 0
	.end_amdhsa_kernel
	.text
.Lfunc_end0:
	.size	fft_rtc_fwd_len1105_factors_17_13_5_wgs_255_tpt_85_halfLds_half_op_CI_CI_sbrr_dirReg, .Lfunc_end0-fft_rtc_fwd_len1105_factors_17_13_5_wgs_255_tpt_85_halfLds_half_op_CI_CI_sbrr_dirReg
                                        ; -- End function
	.section	.AMDGPU.csdata,"",@progbits
; Kernel info:
; codeLenInByte = 13656
; NumSgprs: 61
; NumVgprs: 105
; NumAgprs: 0
; TotalNumVgprs: 105
; ScratchSize: 0
; MemoryBound: 0
; FloatMode: 240
; IeeeMode: 1
; LDSByteSize: 0 bytes/workgroup (compile time only)
; SGPRBlocks: 7
; VGPRBlocks: 13
; NumSGPRsForWavesPerEU: 61
; NumVGPRsForWavesPerEU: 105
; AccumOffset: 108
; Occupancy: 4
; WaveLimiterHint : 1
; COMPUTE_PGM_RSRC2:SCRATCH_EN: 0
; COMPUTE_PGM_RSRC2:USER_SGPR: 2
; COMPUTE_PGM_RSRC2:TRAP_HANDLER: 0
; COMPUTE_PGM_RSRC2:TGID_X_EN: 1
; COMPUTE_PGM_RSRC2:TGID_Y_EN: 0
; COMPUTE_PGM_RSRC2:TGID_Z_EN: 0
; COMPUTE_PGM_RSRC2:TIDIG_COMP_CNT: 0
; COMPUTE_PGM_RSRC3_GFX90A:ACCUM_OFFSET: 26
; COMPUTE_PGM_RSRC3_GFX90A:TG_SPLIT: 0
	.text
	.p2alignl 6, 3212836864
	.fill 256, 4, 3212836864
	.type	__hip_cuid_b0a13dcd5ea89c00,@object ; @__hip_cuid_b0a13dcd5ea89c00
	.section	.bss,"aw",@nobits
	.globl	__hip_cuid_b0a13dcd5ea89c00
__hip_cuid_b0a13dcd5ea89c00:
	.byte	0                               ; 0x0
	.size	__hip_cuid_b0a13dcd5ea89c00, 1

	.ident	"AMD clang version 19.0.0git (https://github.com/RadeonOpenCompute/llvm-project roc-6.4.0 25133 c7fe45cf4b819c5991fe208aaa96edf142730f1d)"
	.section	".note.GNU-stack","",@progbits
	.addrsig
	.addrsig_sym __hip_cuid_b0a13dcd5ea89c00
	.amdgpu_metadata
---
amdhsa.kernels:
  - .agpr_count:     0
    .args:
      - .actual_access:  read_only
        .address_space:  global
        .offset:         0
        .size:           8
        .value_kind:     global_buffer
      - .offset:         8
        .size:           8
        .value_kind:     by_value
      - .actual_access:  read_only
        .address_space:  global
        .offset:         16
        .size:           8
        .value_kind:     global_buffer
      - .actual_access:  read_only
        .address_space:  global
        .offset:         24
        .size:           8
        .value_kind:     global_buffer
      - .actual_access:  read_only
        .address_space:  global
        .offset:         32
        .size:           8
        .value_kind:     global_buffer
      - .offset:         40
        .size:           8
        .value_kind:     by_value
      - .actual_access:  read_only
        .address_space:  global
        .offset:         48
        .size:           8
        .value_kind:     global_buffer
      - .actual_access:  read_only
        .address_space:  global
        .offset:         56
        .size:           8
        .value_kind:     global_buffer
      - .offset:         64
        .size:           4
        .value_kind:     by_value
      - .actual_access:  read_only
        .address_space:  global
        .offset:         72
        .size:           8
        .value_kind:     global_buffer
      - .actual_access:  read_only
        .address_space:  global
        .offset:         80
        .size:           8
        .value_kind:     global_buffer
      - .actual_access:  read_only
        .address_space:  global
        .offset:         88
        .size:           8
        .value_kind:     global_buffer
      - .actual_access:  write_only
        .address_space:  global
        .offset:         96
        .size:           8
        .value_kind:     global_buffer
    .group_segment_fixed_size: 0
    .kernarg_segment_align: 8
    .kernarg_segment_size: 104
    .language:       OpenCL C
    .language_version:
      - 2
      - 0
    .max_flat_workgroup_size: 255
    .name:           fft_rtc_fwd_len1105_factors_17_13_5_wgs_255_tpt_85_halfLds_half_op_CI_CI_sbrr_dirReg
    .private_segment_fixed_size: 0
    .sgpr_count:     61
    .sgpr_spill_count: 0
    .symbol:         fft_rtc_fwd_len1105_factors_17_13_5_wgs_255_tpt_85_halfLds_half_op_CI_CI_sbrr_dirReg.kd
    .uniform_work_group_size: 1
    .uses_dynamic_stack: false
    .vgpr_count:     105
    .vgpr_spill_count: 0
    .wavefront_size: 64
amdhsa.target:   amdgcn-amd-amdhsa--gfx950
amdhsa.version:
  - 1
  - 2
...

	.end_amdgpu_metadata
